;; amdgpu-corpus repo=ROCm/aiter kind=harvested arch=n/a opt=n/a

/root/src/amdgpu-assembly/repos/ROCm__aiter/hsa/gfx950/fmoe_2stages/fmoe_stage1_bf16_pertokenFp8_g1u1_64x64_2tg_pf3.co:	file format elf64-amdgpu

Disassembly of section .text:

0000000000002a00 <_ZN5aiter47fmoe_stage1_bf16_pertokenFp8_g1u1_64x64_2tg_pf3E>:
	s_and_b32 s1, s1, 0xffff                                   // 000000002A00: 8601FF01 0000FFFF
	s_load_dwordx2 s[8:9], s[0:1], 0x0                         // 000000002A08: C0060200 00000000
	s_load_dwordx2 s[20:21], s[0:1], 0x10                      // 000000002A10: C0060500 00000010
	s_load_dwordx2 s[24:25], s[0:1], 0x20                      // 000000002A18: C0060600 00000020
	s_load_dwordx2 s[48:49], s[0:1], 0x30                      // 000000002A20: C0060C00 00000030
	s_load_dwordx2 s[28:29], s[0:1], 0x40                      // 000000002A28: C0060700 00000040
	s_load_dwordx2 s[32:33], s[0:1], 0x50                      // 000000002A30: C0060800 00000050
	s_load_dwordx2 s[36:37], s[0:1], 0x60                      // 000000002A38: C0060900 00000060
	s_load_dwordx2 s[12:13], s[0:1], 0x70                      // 000000002A40: C0060300 00000070
	s_load_dwordx2 s[44:45], s[0:1], 0x80                      // 000000002A48: C0060B00 00000080
	s_mov_b32 s89, 0                                           // 000000002A50: BED90080
	s_load_dword s64, s[0:1], 0x90                             // 000000002A54: C0021000 00000090
	s_load_dword s65, s[0:1], 0xa0                             // 000000002A5C: C0021040 000000A0
	s_load_dword s66, s[0:1], 0xb0                             // 000000002A64: C0021080 000000B0
	s_load_dword s67, s[0:1], 0xc0                             // 000000002A6C: C00210C0 000000C0
	s_load_dword s68, s[0:1], 0xd0                             // 000000002A74: C0021100 000000D0
	s_load_dword s69, s[0:1], 0xe0                             // 000000002A7C: C0021140 000000E0
	s_load_dword s71, s[0:1], 0xf0                             // 000000002A84: C00211C0 000000F0
	s_load_dword s72, s[0:1], 0x100                            // 000000002A8C: C0021200 00000100
	s_load_dword s74, s[0:1], 0x110                            // 000000002A94: C0021280 00000110
	s_load_dword s76, s[0:1], 0x120                            // 000000002A9C: C0021300 00000120
	s_load_dword s56, s[0:1], 0x130                            // 000000002AA4: C0020E00 00000130
	s_load_dword s88, s[0:1], 0x140                            // 000000002AAC: C0021600 00000140
	s_load_dword s89, s[0:1], 0x150                            // 000000002AB4: C0021640 00000150
	v_lshrrev_b32_e32 v1, 10, v0                               // 000000002ABC: 2002008A
	v_lshrrev_b32_e32 v2, 10, v1                               // 000000002AC0: 2004028A
	v_and_b32_e32 v2, 0x3ff, v2                                // 000000002AC4: 260404FF 000003FF
	v_and_b32_e32 v1, 0x3ff, v1                                // 000000002ACC: 260202FF 000003FF
	v_and_b32_e32 v0, 0x3ff, v0                                // 000000002AD4: 260000FF 000003FF
	v_lshrrev_b32_e32 v3, 6, v0                                // 000000002ADC: 20060086
	v_and_b32_e32 v0, 63, v0                                   // 000000002AE0: 260000BF
	s_mov_b32 s2, s2                                           // 000000002AE4: BE820002
	s_mov_b32 s3, s3                                           // 000000002AE8: BE830003
	s_mov_b32 s4, s4                                           // 000000002AEC: BE840004
	v_readfirstlane_b32 s7, v3                                 // 000000002AF0: 7E0E0503
	s_waitcnt lgkmcnt(0)                                       // 000000002AF4: BF8CC07F
	s_and_b32 s49, s49, 0xffff                                 // 000000002AF8: 8631FF31 0000FFFF
	s_load_dword s48, s[48:49], 0x0                            // 000000002B00: C0020C18 00000000
	s_and_b32 s45, s45, 0xffff                                 // 000000002B08: 862DFF2D 0000FFFF
	s_and_b32 s9, s9, 0xffff                                   // 000000002B10: 8609FF09 0000FFFF
	s_mul_i32 s60, s66, s68                                    // 000000002B18: 923C4442
	s_mul_i32 s61, s66, 4                                      // 000000002B1C: 923D8442
	s_mov_b32 s22, s60                                         // 000000002B20: BE96003C
	s_mov_b32 s26, -16                                         // 000000002B24: BE9A00D0
	s_mov_b32 s30, s61                                         // 000000002B28: BE9E003D
	s_mov_b32 s14, 0x100                                       // 000000002B2C: BE8E00FF 00000100
	s_mov_b32 s38, -16                                         // 000000002B34: BEA600D0
	s_mov_b32 s10, -16                                         // 000000002B38: BE8A00D0
	s_mov_b32 s34, 0x100                                       // 000000002B3C: BEA200FF 00000100
	s_mov_b32 s23, 0x20000                                     // 000000002B44: BE9700FF 00020000
	s_mov_b32 s27, 0x20000                                     // 000000002B4C: BE9B00FF 00020000
	s_mov_b32 s31, 0x20000                                     // 000000002B54: BE9F00FF 00020000
	s_mov_b32 s35, 0x20000                                     // 000000002B5C: BEA300FF 00020000
	s_mov_b32 s15, 0x20000                                     // 000000002B64: BE8F00FF 00020000
	s_mov_b32 s39, 0x20000                                     // 000000002B6C: BEA700FF 00020000
	s_mov_b32 s11, 0x20000                                     // 000000002B74: BE8B00FF 00020000
	s_and_b32 s21, s21, 0xffff                                 // 000000002B7C: 8615FF15 0000FFFF
	s_and_b32 s25, s25, 0xffff                                 // 000000002B84: 8619FF19 0000FFFF
	s_and_b32 s29, s29, 0xffff                                 // 000000002B8C: 861DFF1D 0000FFFF
	s_and_b32 s33, s33, 0xffff                                 // 000000002B94: 8621FF21 0000FFFF
	s_and_b32 s13, s13, 0xffff                                 // 000000002B9C: 860DFF0D 0000FFFF
	s_and_b32 s37, s37, 0xffff                                 // 000000002BA4: 8625FF25 0000FFFF
	s_or_b32 s21, s21, 0x40000                                 // 000000002BAC: 8715FF15 00040000
	s_or_b32 s25, s25, 0x40000                                 // 000000002BB4: 8719FF19 00040000
	s_or_b32 s29, s29, 0x40000                                 // 000000002BBC: 871DFF1D 00040000
	s_or_b32 s33, s33, 0x40000                                 // 000000002BC4: 8721FF21 00040000
	s_or_b32 s13, s13, 0x40000                                 // 000000002BCC: 870DFF0D 00040000
	s_or_b32 s37, s37, 0x40000                                 // 000000002BD4: 8725FF25 00040000
	v_accvgpr_write_b32 a87, 0                                 // 000000002BDC: D3D94057 18000080
	v_mov_b32_e32 v87, 0                                       // 000000002BE4: 7EAE0280
	s_waitcnt lgkmcnt(0)                                       // 000000002BE8: BF8CC07F
	s_mul_i32 s60, s3, 64                                      // 000000002BEC: 923CC003
	s_cmp_lt_i32 s60, s48                                      // 000000002BF0: BF04303C
	s_cbranch_scc0 label_16D1                                  // 000000002BF4: BF841650
	s_mov_b32 s80, 0                                           // 000000002BF8: BED00080
	s_lshr_b32 s81, s64, s88                                   // 000000002BFC: 8F515840
	s_mul_i32 s60, s3, 4                                       // 000000002C00: 923C8403
	s_add_u32 s44, s60, s44                                    // 000000002C04: 802C2C3C
	s_addc_u32 s45, 0, s45                                     // 000000002C08: 822D2D80
	s_load_dword s5, s[44:45], 0x0                             // 000000002C0C: C0020156 00000000
	s_mul_i32 s60, s3, 64                                      // 000000002C14: 923CC003
	s_mul_i32 s60, 4, s60                                      // 000000002C18: 923C3C84
	s_add_u32 s12, s60, s12                                    // 000000002C1C: 800C0C3C
	s_addc_u32 s13, 0, s13                                     // 000000002C20: 820D0D80
	v_and_b32_e32 v4, 15, v0                                   // 000000002C24: 2608008F
	v_lshlrev_b32_e32 v4, 2, v4                                // 000000002C28: 24080882
	buffer_load_dword v30, v4, s[12:15], 0 offen               // 000000002C2C: E0501000 80031E04
	v_add_u32_e32 v4, 64, v4                                   // 000000002C34: 680808C0
	buffer_load_dword v31, v4, s[12:15], 0 offen               // 000000002C38: E0501000 80031F04
	v_add_u32_e32 v4, 64, v4                                   // 000000002C40: 680808C0
	buffer_load_dword v32, v4, s[12:15], 0 offen               // 000000002C44: E0501000 80032004
	v_add_u32_e32 v4, 64, v4                                   // 000000002C4C: 680808C0
	buffer_load_dword v33, v4, s[12:15], 0 offen               // 000000002C50: E0501000 80032104
	v_add_u32_e32 v4, 64, v4                                   // 000000002C58: 680808C0
	s_mul_i32 s60, 4, s7                                       // 000000002C5C: 923C0784
	v_lshlrev_b32_e32 v4, 4, v0                                // 000000002C60: 24080084
	v_add_u32_e32 v4, s60, v4                                  // 000000002C64: 6808083C
	buffer_load_dword v3, v4, s[12:15], 0 offen                // 000000002C68: E0501000 80030304
	v_mov_b32_e32 v56, 0                                       // 000000002C70: 7E700280
	v_mov_b32_e32 v72, 0                                       // 000000002C74: 7E900280
	v_mov_b32_e32 v57, 0                                       // 000000002C78: 7E720280
	v_mov_b32_e32 v73, 0                                       // 000000002C7C: 7E920280
	v_mov_b32_e32 v58, 0                                       // 000000002C80: 7E740280
	v_mov_b32_e32 v74, 0                                       // 000000002C84: 7E940280
	v_mov_b32_e32 v59, 0                                       // 000000002C88: 7E760280
	v_mov_b32_e32 v75, 0                                       // 000000002C8C: 7E960280
	v_mov_b32_e32 v60, 0                                       // 000000002C90: 7E780280
	v_mov_b32_e32 v76, 0                                       // 000000002C94: 7E980280
	v_mov_b32_e32 v61, 0                                       // 000000002C98: 7E7A0280
	v_mov_b32_e32 v77, 0                                       // 000000002C9C: 7E9A0280
	v_mov_b32_e32 v62, 0                                       // 000000002CA0: 7E7C0280
	v_mov_b32_e32 v78, 0                                       // 000000002CA4: 7E9C0280
	v_mov_b32_e32 v63, 0                                       // 000000002CA8: 7E7E0280
	v_mov_b32_e32 v79, 0                                       // 000000002CAC: 7E9E0280
	v_mov_b32_e32 v64, 0                                       // 000000002CB0: 7E800280
	v_mov_b32_e32 v80, 0                                       // 000000002CB4: 7EA00280
	v_mov_b32_e32 v65, 0                                       // 000000002CB8: 7E820280
	v_mov_b32_e32 v81, 0                                       // 000000002CBC: 7EA20280
	v_mov_b32_e32 v66, 0                                       // 000000002CC0: 7E840280
	v_mov_b32_e32 v82, 0                                       // 000000002CC4: 7EA40280
	v_mov_b32_e32 v67, 0                                       // 000000002CC8: 7E860280
	v_mov_b32_e32 v83, 0                                       // 000000002CCC: 7EA60280
	v_mov_b32_e32 v68, 0                                       // 000000002CD0: 7E880280
	v_mov_b32_e32 v84, 0                                       // 000000002CD4: 7EA80280
	v_mov_b32_e32 v69, 0                                       // 000000002CD8: 7E8A0280
	v_mov_b32_e32 v85, 0                                       // 000000002CDC: 7EAA0280
	v_mov_b32_e32 v70, 0                                       // 000000002CE0: 7E8C0280
	v_mov_b32_e32 v86, 0                                       // 000000002CE4: 7EAC0280
	v_mov_b32_e32 v71, 0                                       // 000000002CE8: 7E8E0280
	v_mov_b32_e32 v87, 0                                       // 000000002CEC: 7EAE0280
	s_mul_i32 s60, s2, 0x80                                    // 000000002CF0: 923CFF02 00000080
	s_cmp_eq_u32 s88, 0                                        // 000000002CF8: BF068058
	s_cselect_b32 s61, 1, 2                                    // 000000002CFC: 853D8281
	s_mul_i32 s60, s60, s61                                    // 000000002D00: 923C3D3C
	s_mov_b32 s90, s8                                          // 000000002D04: BEDA0008
	s_mov_b32 s91, s9                                          // 000000002D08: BEDB0009
	s_add_u32 s8, s60, s8                                      // 000000002D0C: 8008083C
	s_addc_u32 s9, 0, s9                                       // 000000002D10: 82090980
	v_lshrrev_b32_e32 v4, 4, v0                                // 000000002D14: 20080084
	v_mul_lo_u32 v20, 34, v4                                   // 000000002D18: D2850014 000208A2
	v_and_b32_e32 v4, 15, v0                                   // 000000002D20: 2608008F
	v_mul_lo_u32 v5, 2, v4                                     // 000000002D24: D2850005 00020882
	v_add_u32_e32 v20, v5, v20                                 // 000000002D2C: 68282905
	s_mul_i32 s60, s7, 0x88                                    // 000000002D30: 923CFF07 00000088
	v_add_u32_e32 v20, s60, v20                                // 000000002D38: 6828283C
	v_lshlrev_b32_e32 v20, 2, v20                              // 000000002D3C: 24282882
	v_and_b32_e32 v4, 31, v0                                   // 000000002D40: 2608009F
	v_lshrrev_b32_e32 v4, 1, v4                                // 000000002D44: 20080881
	v_mul_lo_u32 v21, 34, v4                                   // 000000002D48: D2850015 000208A2
	v_lshrrev_b32_e32 v4, 5, v0                                // 000000002D50: 20080085
	v_mul_lo_u32 v4, 8, v4                                     // 000000002D54: D2850004 00020888
	v_add_u32_e32 v21, v21, v4                                 // 000000002D5C: 682A0915
	v_and_b32_e32 v5, 1, v0                                    // 000000002D60: 260A0081
	v_add_u32_e32 v21, v5, v21                                 // 000000002D64: 682A2B05
	s_mul_i32 s60, s7, 2                                       // 000000002D68: 923C8207
	v_add_u32_e32 v21, s60, v21                                // 000000002D6C: 682A2A3C
	v_lshlrev_b32_e32 v21, 2, v21                              // 000000002D70: 242A2A82
	s_mul_i32 s60, s7, 0x820                                   // 000000002D74: 923CFF07 00000820
	s_add_u32 s48, 0, s60                                      // 000000002D7C: 80303C80
	s_add_u32 s49, 0x2080, s48                                 // 000000002D80: 803130FF 00002080
	s_add_u32 s50, 0x2080, s49                                 // 000000002D88: 803231FF 00002080
	v_lshrrev_b32_e32 v4, 4, v0                                // 000000002D90: 20080084
	v_lshlrev_b32_e32 v5, 2, v4                                // 000000002D94: 240A0882
	v_and_b32_e32 v4, 15, v0                                   // 000000002D98: 2608008F
	v_lshrrev_b32_e32 v6, 2, v4                                // 000000002D9C: 200C0882
	v_lshlrev_b32_e32 v6, 5, v6                                // 000000002DA0: 240C0C85
	v_add_u32_e32 v5, v6, v5                                   // 000000002DA4: 680A0B06
	v_and_b32_e32 v4, 3, v0                                    // 000000002DA8: 26080083
	v_mul_u32_u24_e32 v6, 0x208, v4                            // 000000002DAC: 100C08FF 00000208
	v_add_u32_e32 v5, v6, v5                                   // 000000002DB4: 680A0B06
	v_lshlrev_b32_e32 v2, 2, v5                                // 000000002DB8: 24040A82
	s_waitcnt lgkmcnt(0)                                       // 000000002DBC: BF8CC07F
	s_mul_i32 s60, s2, 64                                      // 000000002DC0: 923CC002
	s_mul_i32 s60, s60, s69                                    // 000000002DC4: 923C453C
	s_mul_i32 s61, s5, s72                                     // 000000002DC8: 923D4805
	s_add_u32 s60, s61, s60                                    // 000000002DCC: 803C3C3D
	s_add_u32 s24, s60, s24                                    // 000000002DD0: 8018183C
	s_addc_u32 s25, 0, s25                                     // 000000002DD4: 82191980
	s_lshr_b32 s60, s64, s88                                   // 000000002DD8: 8F3C5840
	s_mul_i32 s60, s4, s60                                     // 000000002DDC: 923C3C04
	s_lshr_b32 s60, s60, 7                                     // 000000002DE0: 8F3C873C
	s_mul_i32 s60, s60, 0x800                                  // 000000002DE4: 923CFF3C 00000800
	s_add_u32 s24, s60, s24                                    // 000000002DEC: 8018183C
	s_addc_u32 s25, 0, s25                                     // 000000002DF0: 82191980
	s_lshr_b32 s60, s69, s88                                   // 000000002DF4: 8F3C5845
	s_mul_i32 s60, s4, s60                                     // 000000002DF8: 923C3C04
	s_add_u32 s20, s60, s20                                    // 000000002DFC: 8014143C
	s_addc_u32 s21, 0, s21                                     // 000000002E00: 82151580
	s_mul_i32 s60, s7, 16                                      // 000000002E04: 923C9007
	s_mul_i32 s60, s60, s69                                    // 000000002E08: 923C453C
	v_lshlrev_b32_e32 v54, 4, v0                               // 000000002E0C: 246C0084
	v_add_u32_e32 v54, s60, v54                                // 000000002E10: 686C6C3C
	s_mul_i32 s60, 64, s69                                     // 000000002E14: 923C45C0
	s_mov_b32 s84, s24                                         // 000000002E18: BED40018
	s_mov_b32 s85, s25                                         // 000000002E1C: BED50019
	s_mov_b32 s86, s26                                         // 000000002E20: BED6001A
	s_mov_b32 s87, s27                                         // 000000002E24: BED7001B
	s_mul_i32 s60, s69, s65                                    // 000000002E28: 923C4145
	s_add_u32 s84, s60, s84                                    // 000000002E2C: 8054543C
	s_addc_u32 s85, 0, s85                                     // 000000002E30: 82555580
	v_lshrrev_b32_e32 v4, 4, v0                                // 000000002E34: 20080084
	v_lshlrev_b32_e32 v5, 2, v4                                // 000000002E38: 240A0882
	v_and_b32_e32 v4, 15, v0                                   // 000000002E3C: 2608008F
	v_lshrrev_b32_e32 v6, 2, v4                                // 000000002E40: 200C0882
	v_lshlrev_b32_e32 v6, 6, v6                                // 000000002E44: 240C0C86
	v_add_u32_e32 v5, v6, v5                                   // 000000002E48: 680A0B06
	v_and_b32_e32 v4, 3, v0                                    // 000000002E4C: 26080083
	v_add_u32_e32 v5, v4, v5                                   // 000000002E50: 680A0B04
	v_lshlrev_b32_e32 v22, 2, v5                               // 000000002E54: 242C0A82
	s_mul_i32 s60, s7, 16                                      // 000000002E58: 923C9007
	s_mul_i32 s60, s60, 4                                      // 000000002E5C: 923C843C
	v_add_u32_e32 v22, s60, v22                                // 000000002E60: 682C2C3C
	s_mul_i32 s60, s2, 64                                      // 000000002E64: 923CC002
	s_mul_i32 s60, s60, 4                                      // 000000002E68: 923C843C
	s_mul_i32 s61, s5, s74                                     // 000000002E6C: 923D4A05
	s_add_u32 s61, s61, s60                                    // 000000002E70: 803D3C3D
	s_add_u32 s32, s61, s32                                    // 000000002E74: 8020203D
	s_addc_u32 s33, 0, s33                                     // 000000002E78: 82212180
	s_mov_b32 s57, 0x80                                        // 000000002E7C: BEB900FF 00000080
	s_mov_b32 s58, 0x800                                       // 000000002E84: BEBA00FF 00000800
	s_mov_b32 s83, s58                                         // 000000002E8C: BED3003A
	s_mov_b32 s52, 0x7060302                                   // 000000002E90: BEB400FF 07060302
	s_mov_b32 s53, 0x400                                       // 000000002E98: BEB500FF 00000400
	s_mov_b32 s54, 0x40100                                     // 000000002EA0: BEB600FF 00040100
	s_mov_b32 s55, 0x4020100                                   // 000000002EA8: BEB700FF 04020100
	s_mov_b32 s6, 0x3fb8aa3b                                   // 000000002EB0: BE8600FF 3FB8AA3B
	s_mov_b32 s78, 0xbd92220c                                  // 000000002EB8: BECE00FF BD92220C
	s_mov_b32 s79, 0xbd92220c                                  // 000000002EC0: BECF00FF BD92220C
	s_mov_b32 m0, s48                                          // 000000002EC8: BEFC0030
	v_mov_b32_e32 v1, 0xbfcc4231                               // 000000002ECC: 7E0202FF BFCC4231
	v_mov_b32_e32 v17, 0xffff0000                              // 000000002ED4: 7E2202FF FFFF0000
	v_mov_b32_e32 v18, 0x7fff0000                              // 000000002EDC: 7E2402FF 7FFF0000
	v_mov_b32_e32 v19, 0x7fff                                  // 000000002EE4: 7E2602FF 00007FFF
	s_waitcnt vmcnt(0) expcnt(0) lgkmcnt(0)                    // 000000002EEC: BF8C0000
	v_lshrrev_b32_e32 v4, 5, v0                                // 000000002EF0: 20080085
	v_xor_b32_e32 v5, 1, v4                                    // 000000002EF4: 2A0A0881
	v_readlane_b32 s82, v3, 0                                  // 000000002EF8: D2890052 00010103
	s_and_b32 s82, s82, 0xffffff                               // 000000002F00: 8652FF52 00FFFFFF
	v_mul_lo_u32 v6, v5, s82                                   // 000000002F08: D2850006 0000A505
	v_readlane_b32 s82, v3, 1                                  // 000000002F10: D2890052 00010303
	s_and_b32 s82, s82, 0xffffff                               // 000000002F18: 8652FF52 00FFFFFF
	v_mul_lo_u32 v7, v4, s82                                   // 000000002F20: D2850007 0000A504
	v_add_u32_e32 v46, v6, v7                                  // 000000002F28: 685C0F06
	v_mul_lo_u32 v46, v46, s68                                 // 000000002F2C: D285002E 0000892E
	v_readlane_b32 s82, v3, 2                                  // 000000002F34: D2890052 00010503
	s_and_b32 s82, s82, 0xffffff                               // 000000002F3C: 8652FF52 00FFFFFF
	v_mul_lo_u32 v6, v5, s82                                   // 000000002F44: D2850006 0000A505
	v_readlane_b32 s82, v3, 3                                  // 000000002F4C: D2890052 00010703
	s_and_b32 s82, s82, 0xffffff                               // 000000002F54: 8652FF52 00FFFFFF
	v_mul_lo_u32 v7, v4, s82                                   // 000000002F5C: D2850007 0000A504
	v_add_u32_e32 v47, v6, v7                                  // 000000002F64: 685E0F06
	v_mul_lo_u32 v47, v47, s68                                 // 000000002F68: D285002F 0000892F
	v_readlane_b32 s82, v3, 4                                  // 000000002F70: D2890052 00010903
	s_and_b32 s82, s82, 0xffffff                               // 000000002F78: 8652FF52 00FFFFFF
	v_mul_lo_u32 v6, v5, s82                                   // 000000002F80: D2850006 0000A505
	v_readlane_b32 s82, v3, 5                                  // 000000002F88: D2890052 00010B03
	s_and_b32 s82, s82, 0xffffff                               // 000000002F90: 8652FF52 00FFFFFF
	v_mul_lo_u32 v7, v4, s82                                   // 000000002F98: D2850007 0000A504
	v_add_u32_e32 v48, v6, v7                                  // 000000002FA0: 68600F06
	v_mul_lo_u32 v48, v48, s68                                 // 000000002FA4: D2850030 00008930
	v_readlane_b32 s82, v3, 6                                  // 000000002FAC: D2890052 00010D03
	s_and_b32 s82, s82, 0xffffff                               // 000000002FB4: 8652FF52 00FFFFFF
	v_mul_lo_u32 v6, v5, s82                                   // 000000002FBC: D2850006 0000A505
	v_readlane_b32 s82, v3, 7                                  // 000000002FC4: D2890052 00010F03
	s_and_b32 s82, s82, 0xffffff                               // 000000002FCC: 8652FF52 00FFFFFF
	v_mul_lo_u32 v7, v4, s82                                   // 000000002FD4: D2850007 0000A504
	v_add_u32_e32 v49, v6, v7                                  // 000000002FDC: 68620F06
	v_mul_lo_u32 v49, v49, s68                                 // 000000002FE0: D2850031 00008931
	v_readlane_b32 s82, v3, 8                                  // 000000002FE8: D2890052 00011103
	s_and_b32 s82, s82, 0xffffff                               // 000000002FF0: 8652FF52 00FFFFFF
	v_mul_lo_u32 v6, v5, s82                                   // 000000002FF8: D2850006 0000A505
	v_readlane_b32 s82, v3, 9                                  // 000000003000: D2890052 00011303
	s_and_b32 s82, s82, 0xffffff                               // 000000003008: 8652FF52 00FFFFFF
	v_mul_lo_u32 v7, v4, s82                                   // 000000003010: D2850007 0000A504
	v_add_u32_e32 v50, v6, v7                                  // 000000003018: 68640F06
	v_mul_lo_u32 v50, v50, s68                                 // 00000000301C: D2850032 00008932
	v_readlane_b32 s82, v3, 10                                 // 000000003024: D2890052 00011503
	s_and_b32 s82, s82, 0xffffff                               // 00000000302C: 8652FF52 00FFFFFF
	v_mul_lo_u32 v6, v5, s82                                   // 000000003034: D2850006 0000A505
	v_readlane_b32 s82, v3, 11                                 // 00000000303C: D2890052 00011703
	s_and_b32 s82, s82, 0xffffff                               // 000000003044: 8652FF52 00FFFFFF
	v_mul_lo_u32 v7, v4, s82                                   // 00000000304C: D2850007 0000A504
	v_add_u32_e32 v51, v6, v7                                  // 000000003054: 68660F06
	v_mul_lo_u32 v51, v51, s68                                 // 000000003058: D2850033 00008933
	v_readlane_b32 s82, v3, 12                                 // 000000003060: D2890052 00011903
	s_and_b32 s82, s82, 0xffffff                               // 000000003068: 8652FF52 00FFFFFF
	v_mul_lo_u32 v6, v5, s82                                   // 000000003070: D2850006 0000A505
	v_readlane_b32 s82, v3, 13                                 // 000000003078: D2890052 00011B03
	s_and_b32 s82, s82, 0xffffff                               // 000000003080: 8652FF52 00FFFFFF
	v_mul_lo_u32 v7, v4, s82                                   // 000000003088: D2850007 0000A504
	v_add_u32_e32 v52, v6, v7                                  // 000000003090: 68680F06
	v_mul_lo_u32 v52, v52, s68                                 // 000000003094: D2850034 00008934
	v_readlane_b32 s82, v3, 14                                 // 00000000309C: D2890052 00011D03
	s_and_b32 s82, s82, 0xffffff                               // 0000000030A4: 8652FF52 00FFFFFF
	v_mul_lo_u32 v6, v5, s82                                   // 0000000030AC: D2850006 0000A505
	v_readlane_b32 s82, v3, 15                                 // 0000000030B4: D2890052 00011F03
	s_and_b32 s82, s82, 0xffffff                               // 0000000030BC: 8652FF52 00FFFFFF
	v_mul_lo_u32 v7, v4, s82                                   // 0000000030C4: D2850007 0000A504
	v_add_u32_e32 v53, v6, v7                                  // 0000000030CC: 686A0F06
	v_mul_lo_u32 v53, v53, s68                                 // 0000000030D0: D2850035 00008935
	v_and_b32_e32 v4, 31, v0                                   // 0000000030D8: 2608009F
	v_lshlrev_b32_e32 v4, 2, v4                                // 0000000030DC: 24080882
	v_add_u32_e32 v46, v46, v4                                 // 0000000030E0: 685C092E
	v_add_u32_e32 v47, v47, v4                                 // 0000000030E4: 685E092F
	v_add_u32_e32 v48, v48, v4                                 // 0000000030E8: 68600930
	v_add_u32_e32 v49, v49, v4                                 // 0000000030EC: 68620931
	v_add_u32_e32 v50, v50, v4                                 // 0000000030F0: 68640932
	v_add_u32_e32 v51, v51, v4                                 // 0000000030F4: 68660933
	v_add_u32_e32 v52, v52, v4                                 // 0000000030F8: 68680934
	v_add_u32_e32 v53, v53, v4                                 // 0000000030FC: 686A0935
	v_and_b32_e32 v30, 0xffffff, v30                           // 000000003100: 263C3CFF 00FFFFFF
	v_lshlrev_b32_e32 v30, 2, v30                              // 000000003108: 243C3C82
	v_and_b32_e32 v31, 0xffffff, v31                           // 00000000310C: 263E3EFF 00FFFFFF
	v_lshlrev_b32_e32 v31, 2, v31                              // 000000003114: 243E3E82
	v_and_b32_e32 v32, 0xffffff, v32                           // 000000003118: 264040FF 00FFFFFF
	v_lshlrev_b32_e32 v32, 2, v32                              // 000000003120: 24404082
	v_and_b32_e32 v33, 0xffffff, v33                           // 000000003124: 264242FF 00FFFFFF
	v_lshlrev_b32_e32 v33, 2, v33                              // 00000000312C: 24424282
	s_lshl_b32 s3, s66, 2                                      // 000000003130: 8E038242
	buffer_load_dword v34, v30, s[28:31], 0 offen              // 000000003134: E0501000 8007221E
	buffer_load_dword v35, v31, s[28:31], 0 offen              // 00000000313C: E0501000 8007231F
	buffer_load_dword v36, v32, s[28:31], 0 offen              // 000000003144: E0501000 80072420
	buffer_load_dword v37, v33, s[28:31], 0 offen              // 00000000314C: E0501000 80072521
	buffer_load_dword v24, v22, s[32:35], 0 offen              // 000000003154: E0501000 80081816
	s_mul_i32 s60, 4, s65                                      // 00000000315C: 923C4184
	s_add_u32 s32, s60, s32                                    // 000000003160: 8020203C
	s_addc_u32 s33, 0, s33                                     // 000000003164: 82212180
	buffer_load_dword v27, v22, s[32:35], 0 offen              // 000000003168: E0501000 80081B16
	buffer_load_dword v46, s[20:23], 0 offen lds               // 000000003170: E0511000 8005002E
	s_add_u32 m0, 0x100, s48                                   // 000000003178: 807C30FF 00000100
	buffer_load_dword v47, s[20:23], 0 offen lds               // 000000003180: E0511000 8005002F
	s_add_u32 m0, 0x200, s48                                   // 000000003188: 807C30FF 00000200
	buffer_load_dword v48, s[20:23], 0 offen lds               // 000000003190: E0511000 80050030
	s_add_u32 m0, 0x300, s48                                   // 000000003198: 807C30FF 00000300
	buffer_load_dword v49, s[20:23], 0 offen lds               // 0000000031A0: E0511000 80050031
	s_add_u32 m0, 0x400, s48                                   // 0000000031A8: 807C30FF 00000400
	buffer_load_dword v50, s[20:23], 0 offen lds               // 0000000031B0: E0511000 80050032
	s_add_u32 m0, 0x500, s48                                   // 0000000031B8: 807C30FF 00000500
	buffer_load_dword v51, s[20:23], 0 offen lds               // 0000000031C0: E0511000 80050033
	s_add_u32 m0, 0x600, s48                                   // 0000000031C8: 807C30FF 00000600
	buffer_load_dword v52, s[20:23], 0 offen lds               // 0000000031D0: E0511000 80050034
	s_add_u32 m0, 0x700, s48                                   // 0000000031D8: 807C30FF 00000700
	buffer_load_dword v53, s[20:23], 0 offen lds               // 0000000031E0: E0511000 80050035
	s_add_u32 m0, 0, s49                                       // 0000000031E8: 807C3180
	s_add_u32 s20, s57, s20                                    // 0000000031EC: 80141439
	s_addc_u32 s21, 0, s21                                     // 0000000031F0: 82151580
	buffer_load_dwordx4 a[64:67], v54, s[24:27], 0 offen       // 0000000031F4: E05C1000 80864036
	buffer_load_dwordx4 a[68:71], v54, s[24:27], 0 offen offset:1024// 0000000031FC: E05C1400 80864436
	s_add_u32 s24, s58, s24                                    // 000000003204: 8018183A
	s_addc_u32 s25, 0, s25                                     // 000000003208: 82191980
	buffer_load_dword v46, s[20:23], 0 offen lds               // 00000000320C: E0511000 8005002E
	s_add_u32 m0, 0x100, s49                                   // 000000003214: 807C31FF 00000100
	buffer_load_dword v47, s[20:23], 0 offen lds               // 00000000321C: E0511000 8005002F
	s_add_u32 m0, 0x200, s49                                   // 000000003224: 807C31FF 00000200
	buffer_load_dword v48, s[20:23], 0 offen lds               // 00000000322C: E0511000 80050030
	s_add_u32 m0, 0x300, s49                                   // 000000003234: 807C31FF 00000300
	buffer_load_dword v49, s[20:23], 0 offen lds               // 00000000323C: E0511000 80050031
	s_add_u32 m0, 0x400, s49                                   // 000000003244: 807C31FF 00000400
	buffer_load_dword v50, s[20:23], 0 offen lds               // 00000000324C: E0511000 80050032
	s_add_u32 m0, 0x500, s49                                   // 000000003254: 807C31FF 00000500
	buffer_load_dword v51, s[20:23], 0 offen lds               // 00000000325C: E0511000 80050033
	s_add_u32 m0, 0x600, s49                                   // 000000003264: 807C31FF 00000600
	buffer_load_dword v52, s[20:23], 0 offen lds               // 00000000326C: E0511000 80050034
	s_add_u32 m0, 0x700, s49                                   // 000000003274: 807C31FF 00000700
	buffer_load_dword v53, s[20:23], 0 offen lds               // 00000000327C: E0511000 80050035
	s_add_u32 m0, 0, s50                                       // 000000003284: 807C3280
	s_add_u32 s20, s57, s20                                    // 000000003288: 80141439
	s_addc_u32 s21, 0, s21                                     // 00000000328C: 82151580
	buffer_load_dwordx4 a[72:75], v54, s[84:87], 0 offen       // 000000003290: E05C1000 80954836
	buffer_load_dwordx4 a[76:79], v54, s[84:87], 0 offen offset:1024// 000000003298: E05C1400 80954C36
	s_add_u32 s84, s83, s84                                    // 0000000032A0: 80545453
	s_addc_u32 s85, 0, s85                                     // 0000000032A4: 82555580
	s_waitcnt vmcnt(12)                                        // 0000000032A8: BF8C0F7C
	s_barrier                                                  // 0000000032AC: BF8A0000
	ds_read_b128 a[0:3], v2                                    // 0000000032B0: DBFE0000 00000002
	ds_read_b128 a[4:7], v2 offset:64                          // 0000000032B8: DBFE0040 04000002
	ds_read_b128 a[8:11], v2 offset:512                        // 0000000032C0: DBFE0200 08000002
	ds_read_b128 a[12:15], v2 offset:576                       // 0000000032C8: DBFE0240 0C000002
	ds_read_b128 a[16:19], v2 offset:1024                      // 0000000032D0: DBFE0400 10000002
	ds_read_b128 a[20:23], v2 offset:1088                      // 0000000032D8: DBFE0440 14000002
	ds_read_b128 a[24:27], v2 offset:1536                      // 0000000032E0: DBFE0600 18000002
	ds_read_b128 a[28:31], v2 offset:1600                      // 0000000032E8: DBFE0640 1C000002
	s_cmp_lt_i32 s7, 2                                         // 0000000032F0: BF048207
	s_cbranch_scc0 label_0C89                                  // 0000000032F4: BF840A48

00000000000032f8 <label_023E>:
	s_waitcnt vmcnt(10) lgkmcnt(0)                             // 0000000032F8: BF8C007A
	v_mfma_f32_16x16x32_fp8_fp8 v[56:59], a[64:65], a[0:1], v[56:59]// 0000000032FC: D3F30038 1CE20140
	v_mfma_f32_16x16x32_fp8_fp8 v[56:59], a[66:67], a[2:3], v[56:59]// 000000003304: D3F30038 1CE20542
	buffer_load_dwordx4 a[80:83], v54, s[24:27], 0 offen       // 00000000330C: E05C1000 80865036
	v_mfma_f32_16x16x32_fp8_fp8 v[56:59], a[68:69], a[4:5], v[56:59]// 000000003314: D3F30038 1CE20944
	v_mfma_f32_16x16x32_fp8_fp8 v[56:59], a[70:71], a[6:7], v[56:59]// 00000000331C: D3F30038 1CE20D46
	v_mfma_f32_16x16x32_fp8_fp8 v[60:63], a[64:65], a[8:9], v[60:63]// 000000003324: D3F3003C 1CF21140
	v_mfma_f32_16x16x32_fp8_fp8 v[60:63], a[66:67], a[10:11], v[60:63]// 00000000332C: D3F3003C 1CF21542
	buffer_load_dwordx4 a[84:87], v54, s[24:27], 0 offen offset:1024// 000000003334: E05C1400 80865436
	buffer_load_dword v46, s[20:23], 0 offen lds               // 00000000333C: E0511000 8005002E
	s_add_u32 m0, 0x100, s50                                   // 000000003344: 807C32FF 00000100
	v_mfma_f32_16x16x32_fp8_fp8 v[60:63], a[68:69], a[12:13], v[60:63]// 00000000334C: D3F3003C 1CF21944
	v_mfma_f32_16x16x32_fp8_fp8 v[60:63], a[70:71], a[14:15], v[60:63]// 000000003354: D3F3003C 1CF21D46
	buffer_load_dword v47, s[20:23], 0 offen lds               // 00000000335C: E0511000 8005002F
	s_add_u32 m0, 0x200, s50                                   // 000000003364: 807C32FF 00000200
	v_mfma_f32_16x16x32_fp8_fp8 v[64:67], a[64:65], a[16:17], v[64:67]// 00000000336C: D3F30040 1D022140
	v_mfma_f32_16x16x32_fp8_fp8 v[64:67], a[66:67], a[18:19], v[64:67]// 000000003374: D3F30040 1D022542
	buffer_load_dword v48, s[20:23], 0 offen lds               // 00000000337C: E0511000 80050030
	s_add_u32 m0, 0x300, s50                                   // 000000003384: 807C32FF 00000300
	v_mfma_f32_16x16x32_fp8_fp8 v[64:67], a[68:69], a[20:21], v[64:67]// 00000000338C: D3F30040 1D022944
	v_mfma_f32_16x16x32_fp8_fp8 v[64:67], a[70:71], a[22:23], v[64:67]// 000000003394: D3F30040 1D022D46
	buffer_load_dword v49, s[20:23], 0 offen lds               // 00000000339C: E0511000 80050031
	s_add_u32 m0, 0x400, s50                                   // 0000000033A4: 807C32FF 00000400
	v_mfma_f32_16x16x32_fp8_fp8 v[68:71], a[64:65], a[24:25], v[68:71]// 0000000033AC: D3F30044 1D123140
	v_mfma_f32_16x16x32_fp8_fp8 v[68:71], a[66:67], a[26:27], v[68:71]// 0000000033B4: D3F30044 1D123542
	buffer_load_dword v50, s[20:23], 0 offen lds               // 0000000033BC: E0511000 80050032
	s_add_u32 m0, 0x500, s50                                   // 0000000033C4: 807C32FF 00000500
	v_mfma_f32_16x16x32_fp8_fp8 v[68:71], a[68:69], a[28:29], v[68:71]// 0000000033CC: D3F30044 1D123944
	v_mfma_f32_16x16x32_fp8_fp8 v[68:71], a[70:71], a[30:31], v[68:71]// 0000000033D4: D3F30044 1D123D46
	buffer_load_dword v51, s[20:23], 0 offen lds               // 0000000033DC: E0511000 80050033
	s_add_u32 m0, 0x600, s50                                   // 0000000033E4: 807C32FF 00000600
	buffer_load_dword v52, s[20:23], 0 offen lds               // 0000000033EC: E0511000 80050034
	s_add_u32 m0, 0x700, s50                                   // 0000000033F4: 807C32FF 00000700
	buffer_load_dword v53, s[20:23], 0 offen lds               // 0000000033FC: E0511000 80050035
	s_add_u32 m0, 0, s48                                       // 000000003404: 807C3080
	s_waitcnt vmcnt(10)                                        // 000000003408: BF8C0F7A
	s_barrier                                                  // 00000000340C: BF8A0000
	v_mfma_f32_16x16x32_fp8_fp8 v[72:75], a[72:73], a[0:1], v[72:75]// 000000003410: D3F30048 1D220148
	v_mfma_f32_16x16x32_fp8_fp8 v[72:75], a[74:75], a[2:3], v[72:75]// 000000003418: D3F30048 1D22054A
	buffer_load_dwordx4 a[64:67], v54, s[84:87], 0 offen       // 000000003420: E05C1000 80954036
	v_mfma_f32_16x16x32_fp8_fp8 v[72:75], a[76:77], a[4:5], v[72:75]// 000000003428: D3F30048 1D22094C
	v_mfma_f32_16x16x32_fp8_fp8 v[72:75], a[78:79], a[6:7], v[72:75]// 000000003430: D3F30048 1D220D4E
	ds_read_b128 a[32:35], v2 offset:8320                      // 000000003438: DBFE2080 20000002
	ds_read_b128 a[36:39], v2 offset:8384                      // 000000003440: DBFE20C0 24000002
	v_mfma_f32_16x16x32_fp8_fp8 v[76:79], a[72:73], a[8:9], v[76:79]// 000000003448: D3F3004C 1D321148
	v_mfma_f32_16x16x32_fp8_fp8 v[76:79], a[74:75], a[10:11], v[76:79]// 000000003450: D3F3004C 1D32154A
	buffer_load_dwordx4 a[68:71], v54, s[84:87], 0 offen offset:1024// 000000003458: E05C1400 80954436
	v_mfma_f32_16x16x32_fp8_fp8 v[76:79], a[76:77], a[12:13], v[76:79]// 000000003460: D3F3004C 1D32194C
	v_mfma_f32_16x16x32_fp8_fp8 v[76:79], a[78:79], a[14:15], v[76:79]// 000000003468: D3F3004C 1D321D4E
	ds_read_b128 a[40:43], v2 offset:8832                      // 000000003470: DBFE2280 28000002
	ds_read_b128 a[44:47], v2 offset:8896                      // 000000003478: DBFE22C0 2C000002
	v_mfma_f32_16x16x32_fp8_fp8 v[80:83], a[72:73], a[16:17], v[80:83]// 000000003480: D3F30050 1D422148
	s_add_u32 s60, 0x180, s80                                  // 000000003488: 803C50FF 00000180
	s_cmp_lt_u32 s60, s81                                      // 000000003490: BF0A513C
	s_cselect_b32 s57, s57, 0                                  // 000000003494: 85398039
	v_mfma_f32_16x16x32_fp8_fp8 v[80:83], a[74:75], a[18:19], v[80:83]// 000000003498: D3F30050 1D42254A
	s_add_u32 s60, 0x100, s80                                  // 0000000034A0: 803C50FF 00000100
	s_cmp_lt_u32 s60, s81                                      // 0000000034A8: BF0A513C
	s_cselect_b32 s58, s58, 0                                  // 0000000034AC: 853A803A
	v_mfma_f32_16x16x32_fp8_fp8 v[80:83], a[76:77], a[20:21], v[80:83]// 0000000034B0: D3F30050 1D42294C
	s_add_u32 s60, 0x100, s80                                  // 0000000034B8: 803C50FF 00000100
	s_cmp_lt_u32 s60, s81                                      // 0000000034C0: BF0A513C
	s_cselect_b32 s83, s83, 0                                  // 0000000034C4: 85538053
	v_mfma_f32_16x16x32_fp8_fp8 v[80:83], a[78:79], a[22:23], v[80:83]// 0000000034C8: D3F30050 1D422D4E
	ds_read_b128 a[48:51], v2 offset:9344                      // 0000000034D0: DBFE2480 30000002
	ds_read_b128 a[52:55], v2 offset:9408                      // 0000000034D8: DBFE24C0 34000002
	s_add_u32 s24, s58, s24                                    // 0000000034E0: 8018183A
	s_addc_u32 s25, 0, s25                                     // 0000000034E4: 82191980
	v_mfma_f32_16x16x32_fp8_fp8 v[84:87], a[72:73], a[24:25], v[84:87]// 0000000034E8: D3F30054 1D523148
	s_add_u32 s20, s57, s20                                    // 0000000034F0: 80141439
	s_addc_u32 s21, 0, s21                                     // 0000000034F4: 82151580
	v_mfma_f32_16x16x32_fp8_fp8 v[84:87], a[74:75], a[26:27], v[84:87]// 0000000034F8: D3F30054 1D52354A
	s_add_u32 s84, s83, s84                                    // 000000003500: 80545453
	s_addc_u32 s85, 0, s85                                     // 000000003504: 82555580
	v_mfma_f32_16x16x32_fp8_fp8 v[84:87], a[76:77], a[28:29], v[84:87]// 000000003508: D3F30054 1D52394C
	v_mfma_f32_16x16x32_fp8_fp8 v[84:87], a[78:79], a[30:31], v[84:87]// 000000003510: D3F30054 1D523D4E
	ds_read_b128 a[56:59], v2 offset:9856                      // 000000003518: DBFE2680 38000002
	ds_read_b128 a[60:63], v2 offset:9920                      // 000000003520: DBFE26C0 3C000002
	s_addk_i32 s80, 0x80                                       // 000000003528: B7500080
	s_cmp_lt_i32 s80, s81                                      // 00000000352C: BF045150
	s_cbranch_scc0 label_0599                                  // 000000003530: BF8402CC
	s_waitcnt vmcnt(10) lgkmcnt(0)                             // 000000003534: BF8C007A
	v_mfma_f32_16x16x32_fp8_fp8 v[56:59], a[80:81], a[32:33], v[56:59]// 000000003538: D3F30038 1CE24150
	v_mfma_f32_16x16x32_fp8_fp8 v[56:59], a[82:83], a[34:35], v[56:59]// 000000003540: D3F30038 1CE24552
	buffer_load_dwordx4 a[72:75], v54, s[24:27], 0 offen       // 000000003548: E05C1000 80864836
	v_mfma_f32_16x16x32_fp8_fp8 v[56:59], a[84:85], a[36:37], v[56:59]// 000000003550: D3F30038 1CE24954
	v_mfma_f32_16x16x32_fp8_fp8 v[56:59], a[86:87], a[38:39], v[56:59]// 000000003558: D3F30038 1CE24D56
	v_mfma_f32_16x16x32_fp8_fp8 v[60:63], a[80:81], a[40:41], v[60:63]// 000000003560: D3F3003C 1CF25150
	v_mfma_f32_16x16x32_fp8_fp8 v[60:63], a[82:83], a[42:43], v[60:63]// 000000003568: D3F3003C 1CF25552
	buffer_load_dwordx4 a[76:79], v54, s[24:27], 0 offen offset:1024// 000000003570: E05C1400 80864C36
	buffer_load_dword v46, s[20:23], 0 offen lds               // 000000003578: E0511000 8005002E
	s_add_u32 m0, 0x100, s48                                   // 000000003580: 807C30FF 00000100
	v_mfma_f32_16x16x32_fp8_fp8 v[60:63], a[84:85], a[44:45], v[60:63]// 000000003588: D3F3003C 1CF25954
	v_mfma_f32_16x16x32_fp8_fp8 v[60:63], a[86:87], a[46:47], v[60:63]// 000000003590: D3F3003C 1CF25D56
	buffer_load_dword v47, s[20:23], 0 offen lds               // 000000003598: E0511000 8005002F
	s_add_u32 m0, 0x200, s48                                   // 0000000035A0: 807C30FF 00000200
	v_mfma_f32_16x16x32_fp8_fp8 v[64:67], a[80:81], a[48:49], v[64:67]// 0000000035A8: D3F30040 1D026150
	v_mfma_f32_16x16x32_fp8_fp8 v[64:67], a[82:83], a[50:51], v[64:67]// 0000000035B0: D3F30040 1D026552
	buffer_load_dword v48, s[20:23], 0 offen lds               // 0000000035B8: E0511000 80050030
	s_add_u32 m0, 0x300, s48                                   // 0000000035C0: 807C30FF 00000300
	v_mfma_f32_16x16x32_fp8_fp8 v[64:67], a[84:85], a[52:53], v[64:67]// 0000000035C8: D3F30040 1D026954
	v_mfma_f32_16x16x32_fp8_fp8 v[64:67], a[86:87], a[54:55], v[64:67]// 0000000035D0: D3F30040 1D026D56
	buffer_load_dword v49, s[20:23], 0 offen lds               // 0000000035D8: E0511000 80050031
	s_add_u32 m0, 0x400, s48                                   // 0000000035E0: 807C30FF 00000400
	v_mfma_f32_16x16x32_fp8_fp8 v[68:71], a[80:81], a[56:57], v[68:71]// 0000000035E8: D3F30044 1D127150
	v_mfma_f32_16x16x32_fp8_fp8 v[68:71], a[82:83], a[58:59], v[68:71]// 0000000035F0: D3F30044 1D127552
	buffer_load_dword v50, s[20:23], 0 offen lds               // 0000000035F8: E0511000 80050032
	s_add_u32 m0, 0x500, s48                                   // 000000003600: 807C30FF 00000500
	v_mfma_f32_16x16x32_fp8_fp8 v[68:71], a[84:85], a[60:61], v[68:71]// 000000003608: D3F30044 1D127954
	v_mfma_f32_16x16x32_fp8_fp8 v[68:71], a[86:87], a[62:63], v[68:71]// 000000003610: D3F30044 1D127D56
	buffer_load_dword v51, s[20:23], 0 offen lds               // 000000003618: E0511000 80050033
	s_add_u32 m0, 0x600, s48                                   // 000000003620: 807C30FF 00000600
	buffer_load_dword v52, s[20:23], 0 offen lds               // 000000003628: E0511000 80050034
	s_add_u32 m0, 0x700, s48                                   // 000000003630: 807C30FF 00000700
	buffer_load_dword v53, s[20:23], 0 offen lds               // 000000003638: E0511000 80050035
	s_add_u32 m0, 0, s49                                       // 000000003640: 807C3180
	s_waitcnt vmcnt(10)                                        // 000000003644: BF8C0F7A
	s_barrier                                                  // 000000003648: BF8A0000
	v_mfma_f32_16x16x32_fp8_fp8 v[72:75], a[64:65], a[32:33], v[72:75]// 00000000364C: D3F30048 1D224140
	v_mfma_f32_16x16x32_fp8_fp8 v[72:75], a[66:67], a[34:35], v[72:75]// 000000003654: D3F30048 1D224542
	buffer_load_dwordx4 a[80:83], v54, s[84:87], 0 offen       // 00000000365C: E05C1000 80955036
	v_mfma_f32_16x16x32_fp8_fp8 v[72:75], a[68:69], a[36:37], v[72:75]// 000000003664: D3F30048 1D224944
	v_mfma_f32_16x16x32_fp8_fp8 v[72:75], a[70:71], a[38:39], v[72:75]// 00000000366C: D3F30048 1D224D46
	ds_read_b128 a[0:3], v2 offset:16640                       // 000000003674: DBFE4100 00000002
	ds_read_b128 a[4:7], v2 offset:16704                       // 00000000367C: DBFE4140 04000002
	v_mfma_f32_16x16x32_fp8_fp8 v[76:79], a[64:65], a[40:41], v[76:79]// 000000003684: D3F3004C 1D325140
	v_mfma_f32_16x16x32_fp8_fp8 v[76:79], a[66:67], a[42:43], v[76:79]// 00000000368C: D3F3004C 1D325542
	buffer_load_dwordx4 a[84:87], v54, s[84:87], 0 offen offset:1024// 000000003694: E05C1400 80955436
	v_mfma_f32_16x16x32_fp8_fp8 v[76:79], a[68:69], a[44:45], v[76:79]// 00000000369C: D3F3004C 1D325944
	v_mfma_f32_16x16x32_fp8_fp8 v[76:79], a[70:71], a[46:47], v[76:79]// 0000000036A4: D3F3004C 1D325D46
	ds_read_b128 a[8:11], v2 offset:17152                      // 0000000036AC: DBFE4300 08000002
	ds_read_b128 a[12:15], v2 offset:17216                     // 0000000036B4: DBFE4340 0C000002
	v_mfma_f32_16x16x32_fp8_fp8 v[80:83], a[64:65], a[48:49], v[80:83]// 0000000036BC: D3F30050 1D426140
	s_add_u32 s60, 0x180, s80                                  // 0000000036C4: 803C50FF 00000180
	s_cmp_lt_u32 s60, s81                                      // 0000000036CC: BF0A513C
	s_cselect_b32 s57, s57, 0                                  // 0000000036D0: 85398039
	v_mfma_f32_16x16x32_fp8_fp8 v[80:83], a[66:67], a[50:51], v[80:83]// 0000000036D4: D3F30050 1D426542
	s_add_u32 s60, 0x100, s80                                  // 0000000036DC: 803C50FF 00000100
	s_cmp_lt_u32 s60, s81                                      // 0000000036E4: BF0A513C
	s_cselect_b32 s58, s58, 0                                  // 0000000036E8: 853A803A
	v_mfma_f32_16x16x32_fp8_fp8 v[80:83], a[68:69], a[52:53], v[80:83]// 0000000036EC: D3F30050 1D426944
	s_add_u32 s60, 0x100, s80                                  // 0000000036F4: 803C50FF 00000100
	s_cmp_lt_u32 s60, s81                                      // 0000000036FC: BF0A513C
	s_cselect_b32 s83, s83, 0                                  // 000000003700: 85538053
	v_mfma_f32_16x16x32_fp8_fp8 v[80:83], a[70:71], a[54:55], v[80:83]// 000000003704: D3F30050 1D426D46
	ds_read_b128 a[16:19], v2 offset:17664                     // 00000000370C: DBFE4500 10000002
	ds_read_b128 a[20:23], v2 offset:17728                     // 000000003714: DBFE4540 14000002
	s_add_u32 s24, s58, s24                                    // 00000000371C: 8018183A
	s_addc_u32 s25, 0, s25                                     // 000000003720: 82191980
	v_mfma_f32_16x16x32_fp8_fp8 v[84:87], a[64:65], a[56:57], v[84:87]// 000000003724: D3F30054 1D527140
	s_add_u32 s20, s57, s20                                    // 00000000372C: 80141439
	s_addc_u32 s21, 0, s21                                     // 000000003730: 82151580
	v_mfma_f32_16x16x32_fp8_fp8 v[84:87], a[66:67], a[58:59], v[84:87]// 000000003734: D3F30054 1D527542
	s_add_u32 s84, s83, s84                                    // 00000000373C: 80545453
	s_addc_u32 s85, 0, s85                                     // 000000003740: 82555580
	v_mfma_f32_16x16x32_fp8_fp8 v[84:87], a[68:69], a[60:61], v[84:87]// 000000003744: D3F30054 1D527944
	v_mfma_f32_16x16x32_fp8_fp8 v[84:87], a[70:71], a[62:63], v[84:87]// 00000000374C: D3F30054 1D527D46
	ds_read_b128 a[24:27], v2 offset:18176                     // 000000003754: DBFE4700 18000002
	ds_read_b128 a[28:31], v2 offset:18240                     // 00000000375C: DBFE4740 1C000002
	s_addk_i32 s80, 0x80                                       // 000000003764: B7500080
	s_cmp_lt_i32 s80, s81                                      // 000000003768: BF045150
	s_cbranch_scc0 label_0599                                  // 00000000376C: BF84023D
	s_waitcnt vmcnt(10) lgkmcnt(0)                             // 000000003770: BF8C007A
	v_mfma_f32_16x16x32_fp8_fp8 v[56:59], a[72:73], a[0:1], v[56:59]// 000000003774: D3F30038 1CE20148
	v_mfma_f32_16x16x32_fp8_fp8 v[56:59], a[74:75], a[2:3], v[56:59]// 00000000377C: D3F30038 1CE2054A
	buffer_load_dwordx4 a[64:67], v54, s[24:27], 0 offen       // 000000003784: E05C1000 80864036
	v_mfma_f32_16x16x32_fp8_fp8 v[56:59], a[76:77], a[4:5], v[56:59]// 00000000378C: D3F30038 1CE2094C
	v_mfma_f32_16x16x32_fp8_fp8 v[56:59], a[78:79], a[6:7], v[56:59]// 000000003794: D3F30038 1CE20D4E
	v_mfma_f32_16x16x32_fp8_fp8 v[60:63], a[72:73], a[8:9], v[60:63]// 00000000379C: D3F3003C 1CF21148
	v_mfma_f32_16x16x32_fp8_fp8 v[60:63], a[74:75], a[10:11], v[60:63]// 0000000037A4: D3F3003C 1CF2154A
	buffer_load_dwordx4 a[68:71], v54, s[24:27], 0 offen offset:1024// 0000000037AC: E05C1400 80864436
	buffer_load_dword v46, s[20:23], 0 offen lds               // 0000000037B4: E0511000 8005002E
	s_add_u32 m0, 0x100, s49                                   // 0000000037BC: 807C31FF 00000100
	v_mfma_f32_16x16x32_fp8_fp8 v[60:63], a[76:77], a[12:13], v[60:63]// 0000000037C4: D3F3003C 1CF2194C
	v_mfma_f32_16x16x32_fp8_fp8 v[60:63], a[78:79], a[14:15], v[60:63]// 0000000037CC: D3F3003C 1CF21D4E
	buffer_load_dword v47, s[20:23], 0 offen lds               // 0000000037D4: E0511000 8005002F
	s_add_u32 m0, 0x200, s49                                   // 0000000037DC: 807C31FF 00000200
	v_mfma_f32_16x16x32_fp8_fp8 v[64:67], a[72:73], a[16:17], v[64:67]// 0000000037E4: D3F30040 1D022148
	v_mfma_f32_16x16x32_fp8_fp8 v[64:67], a[74:75], a[18:19], v[64:67]// 0000000037EC: D3F30040 1D02254A
	buffer_load_dword v48, s[20:23], 0 offen lds               // 0000000037F4: E0511000 80050030
	s_add_u32 m0, 0x300, s49                                   // 0000000037FC: 807C31FF 00000300
	v_mfma_f32_16x16x32_fp8_fp8 v[64:67], a[76:77], a[20:21], v[64:67]// 000000003804: D3F30040 1D02294C
	v_mfma_f32_16x16x32_fp8_fp8 v[64:67], a[78:79], a[22:23], v[64:67]// 00000000380C: D3F30040 1D022D4E
	buffer_load_dword v49, s[20:23], 0 offen lds               // 000000003814: E0511000 80050031
	s_add_u32 m0, 0x400, s49                                   // 00000000381C: 807C31FF 00000400
	v_mfma_f32_16x16x32_fp8_fp8 v[68:71], a[72:73], a[24:25], v[68:71]// 000000003824: D3F30044 1D123148
	v_mfma_f32_16x16x32_fp8_fp8 v[68:71], a[74:75], a[26:27], v[68:71]// 00000000382C: D3F30044 1D12354A
	buffer_load_dword v50, s[20:23], 0 offen lds               // 000000003834: E0511000 80050032
	s_add_u32 m0, 0x500, s49                                   // 00000000383C: 807C31FF 00000500
	v_mfma_f32_16x16x32_fp8_fp8 v[68:71], a[76:77], a[28:29], v[68:71]// 000000003844: D3F30044 1D12394C
	v_mfma_f32_16x16x32_fp8_fp8 v[68:71], a[78:79], a[30:31], v[68:71]// 00000000384C: D3F30044 1D123D4E
	buffer_load_dword v51, s[20:23], 0 offen lds               // 000000003854: E0511000 80050033
	s_add_u32 m0, 0x600, s49                                   // 00000000385C: 807C31FF 00000600
	buffer_load_dword v52, s[20:23], 0 offen lds               // 000000003864: E0511000 80050034
	s_add_u32 m0, 0x700, s49                                   // 00000000386C: 807C31FF 00000700
	buffer_load_dword v53, s[20:23], 0 offen lds               // 000000003874: E0511000 80050035
	s_add_u32 m0, 0, s50                                       // 00000000387C: 807C3280
	s_waitcnt vmcnt(10)                                        // 000000003880: BF8C0F7A
	s_barrier                                                  // 000000003884: BF8A0000
	v_mfma_f32_16x16x32_fp8_fp8 v[72:75], a[80:81], a[0:1], v[72:75]// 000000003888: D3F30048 1D220150
	v_mfma_f32_16x16x32_fp8_fp8 v[72:75], a[82:83], a[2:3], v[72:75]// 000000003890: D3F30048 1D220552
	buffer_load_dwordx4 a[72:75], v54, s[84:87], 0 offen       // 000000003898: E05C1000 80954836
	v_mfma_f32_16x16x32_fp8_fp8 v[72:75], a[84:85], a[4:5], v[72:75]// 0000000038A0: D3F30048 1D220954
	v_mfma_f32_16x16x32_fp8_fp8 v[72:75], a[86:87], a[6:7], v[72:75]// 0000000038A8: D3F30048 1D220D56
	ds_read_b128 a[32:35], v2                                  // 0000000038B0: DBFE0000 20000002
	ds_read_b128 a[36:39], v2 offset:64                        // 0000000038B8: DBFE0040 24000002
	v_mfma_f32_16x16x32_fp8_fp8 v[76:79], a[80:81], a[8:9], v[76:79]// 0000000038C0: D3F3004C 1D321150
	v_mfma_f32_16x16x32_fp8_fp8 v[76:79], a[82:83], a[10:11], v[76:79]// 0000000038C8: D3F3004C 1D321552
	buffer_load_dwordx4 a[76:79], v54, s[84:87], 0 offen offset:1024// 0000000038D0: E05C1400 80954C36
	v_mfma_f32_16x16x32_fp8_fp8 v[76:79], a[84:85], a[12:13], v[76:79]// 0000000038D8: D3F3004C 1D321954
	v_mfma_f32_16x16x32_fp8_fp8 v[76:79], a[86:87], a[14:15], v[76:79]// 0000000038E0: D3F3004C 1D321D56
	ds_read_b128 a[40:43], v2 offset:512                       // 0000000038E8: DBFE0200 28000002
	ds_read_b128 a[44:47], v2 offset:576                       // 0000000038F0: DBFE0240 2C000002
	v_mfma_f32_16x16x32_fp8_fp8 v[80:83], a[80:81], a[16:17], v[80:83]// 0000000038F8: D3F30050 1D422150
	s_add_u32 s60, 0x180, s80                                  // 000000003900: 803C50FF 00000180
	s_cmp_lt_u32 s60, s81                                      // 000000003908: BF0A513C
	s_cselect_b32 s57, s57, 0                                  // 00000000390C: 85398039
	v_mfma_f32_16x16x32_fp8_fp8 v[80:83], a[82:83], a[18:19], v[80:83]// 000000003910: D3F30050 1D422552
	s_add_u32 s60, 0x100, s80                                  // 000000003918: 803C50FF 00000100
	s_cmp_lt_u32 s60, s81                                      // 000000003920: BF0A513C
	s_cselect_b32 s58, s58, 0                                  // 000000003924: 853A803A
	v_mfma_f32_16x16x32_fp8_fp8 v[80:83], a[84:85], a[20:21], v[80:83]// 000000003928: D3F30050 1D422954
	s_add_u32 s60, 0x100, s80                                  // 000000003930: 803C50FF 00000100
	s_cmp_lt_u32 s60, s81                                      // 000000003938: BF0A513C
	s_cselect_b32 s83, s83, 0                                  // 00000000393C: 85538053
	v_mfma_f32_16x16x32_fp8_fp8 v[80:83], a[86:87], a[22:23], v[80:83]// 000000003940: D3F30050 1D422D56
	ds_read_b128 a[48:51], v2 offset:1024                      // 000000003948: DBFE0400 30000002
	ds_read_b128 a[52:55], v2 offset:1088                      // 000000003950: DBFE0440 34000002
	s_add_u32 s24, s58, s24                                    // 000000003958: 8018183A
	s_addc_u32 s25, 0, s25                                     // 00000000395C: 82191980
	v_mfma_f32_16x16x32_fp8_fp8 v[84:87], a[80:81], a[24:25], v[84:87]// 000000003960: D3F30054 1D523150
	s_add_u32 s20, s57, s20                                    // 000000003968: 80141439
	s_addc_u32 s21, 0, s21                                     // 00000000396C: 82151580
	v_mfma_f32_16x16x32_fp8_fp8 v[84:87], a[82:83], a[26:27], v[84:87]// 000000003970: D3F30054 1D523552
	s_add_u32 s84, s83, s84                                    // 000000003978: 80545453
	s_addc_u32 s85, 0, s85                                     // 00000000397C: 82555580
	v_mfma_f32_16x16x32_fp8_fp8 v[84:87], a[84:85], a[28:29], v[84:87]// 000000003980: D3F30054 1D523954
	v_mfma_f32_16x16x32_fp8_fp8 v[84:87], a[86:87], a[30:31], v[84:87]// 000000003988: D3F30054 1D523D56
	ds_read_b128 a[56:59], v2 offset:1536                      // 000000003990: DBFE0600 38000002
	ds_read_b128 a[60:63], v2 offset:1600                      // 000000003998: DBFE0640 3C000002
	s_addk_i32 s80, 0x80                                       // 0000000039A0: B7500080
	s_cmp_lt_i32 s80, s81                                      // 0000000039A4: BF045150
	s_cbranch_scc0 label_0599                                  // 0000000039A8: BF8401AE
	s_waitcnt vmcnt(10) lgkmcnt(0)                             // 0000000039AC: BF8C007A
	v_mfma_f32_16x16x32_fp8_fp8 v[56:59], a[64:65], a[32:33], v[56:59]// 0000000039B0: D3F30038 1CE24140
	v_mfma_f32_16x16x32_fp8_fp8 v[56:59], a[66:67], a[34:35], v[56:59]// 0000000039B8: D3F30038 1CE24542
	buffer_load_dwordx4 a[80:83], v54, s[24:27], 0 offen       // 0000000039C0: E05C1000 80865036
	v_mfma_f32_16x16x32_fp8_fp8 v[56:59], a[68:69], a[36:37], v[56:59]// 0000000039C8: D3F30038 1CE24944
	v_mfma_f32_16x16x32_fp8_fp8 v[56:59], a[70:71], a[38:39], v[56:59]// 0000000039D0: D3F30038 1CE24D46
	v_mfma_f32_16x16x32_fp8_fp8 v[60:63], a[64:65], a[40:41], v[60:63]// 0000000039D8: D3F3003C 1CF25140
	v_mfma_f32_16x16x32_fp8_fp8 v[60:63], a[66:67], a[42:43], v[60:63]// 0000000039E0: D3F3003C 1CF25542
	buffer_load_dwordx4 a[84:87], v54, s[24:27], 0 offen offset:1024// 0000000039E8: E05C1400 80865436
	buffer_load_dword v46, s[20:23], 0 offen lds               // 0000000039F0: E0511000 8005002E
	s_add_u32 m0, 0x100, s50                                   // 0000000039F8: 807C32FF 00000100
	v_mfma_f32_16x16x32_fp8_fp8 v[60:63], a[68:69], a[44:45], v[60:63]// 000000003A00: D3F3003C 1CF25944
	v_mfma_f32_16x16x32_fp8_fp8 v[60:63], a[70:71], a[46:47], v[60:63]// 000000003A08: D3F3003C 1CF25D46
	buffer_load_dword v47, s[20:23], 0 offen lds               // 000000003A10: E0511000 8005002F
	s_add_u32 m0, 0x200, s50                                   // 000000003A18: 807C32FF 00000200
	v_mfma_f32_16x16x32_fp8_fp8 v[64:67], a[64:65], a[48:49], v[64:67]// 000000003A20: D3F30040 1D026140
	v_mfma_f32_16x16x32_fp8_fp8 v[64:67], a[66:67], a[50:51], v[64:67]// 000000003A28: D3F30040 1D026542
	buffer_load_dword v48, s[20:23], 0 offen lds               // 000000003A30: E0511000 80050030
	s_add_u32 m0, 0x300, s50                                   // 000000003A38: 807C32FF 00000300
	v_mfma_f32_16x16x32_fp8_fp8 v[64:67], a[68:69], a[52:53], v[64:67]// 000000003A40: D3F30040 1D026944
	v_mfma_f32_16x16x32_fp8_fp8 v[64:67], a[70:71], a[54:55], v[64:67]// 000000003A48: D3F30040 1D026D46
	buffer_load_dword v49, s[20:23], 0 offen lds               // 000000003A50: E0511000 80050031
	s_add_u32 m0, 0x400, s50                                   // 000000003A58: 807C32FF 00000400
	v_mfma_f32_16x16x32_fp8_fp8 v[68:71], a[64:65], a[56:57], v[68:71]// 000000003A60: D3F30044 1D127140
	v_mfma_f32_16x16x32_fp8_fp8 v[68:71], a[66:67], a[58:59], v[68:71]// 000000003A68: D3F30044 1D127542
	buffer_load_dword v50, s[20:23], 0 offen lds               // 000000003A70: E0511000 80050032
	s_add_u32 m0, 0x500, s50                                   // 000000003A78: 807C32FF 00000500
	v_mfma_f32_16x16x32_fp8_fp8 v[68:71], a[68:69], a[60:61], v[68:71]// 000000003A80: D3F30044 1D127944
	v_mfma_f32_16x16x32_fp8_fp8 v[68:71], a[70:71], a[62:63], v[68:71]// 000000003A88: D3F30044 1D127D46
	buffer_load_dword v51, s[20:23], 0 offen lds               // 000000003A90: E0511000 80050033
	s_add_u32 m0, 0x600, s50                                   // 000000003A98: 807C32FF 00000600
	buffer_load_dword v52, s[20:23], 0 offen lds               // 000000003AA0: E0511000 80050034
	s_add_u32 m0, 0x700, s50                                   // 000000003AA8: 807C32FF 00000700
	buffer_load_dword v53, s[20:23], 0 offen lds               // 000000003AB0: E0511000 80050035
	s_add_u32 m0, 0, s48                                       // 000000003AB8: 807C3080
	s_waitcnt vmcnt(10)                                        // 000000003ABC: BF8C0F7A
	s_barrier                                                  // 000000003AC0: BF8A0000
	v_mfma_f32_16x16x32_fp8_fp8 v[72:75], a[72:73], a[32:33], v[72:75]// 000000003AC4: D3F30048 1D224148
	v_mfma_f32_16x16x32_fp8_fp8 v[72:75], a[74:75], a[34:35], v[72:75]// 000000003ACC: D3F30048 1D22454A
	buffer_load_dwordx4 a[64:67], v54, s[84:87], 0 offen       // 000000003AD4: E05C1000 80954036
	v_mfma_f32_16x16x32_fp8_fp8 v[72:75], a[76:77], a[36:37], v[72:75]// 000000003ADC: D3F30048 1D22494C
	v_mfma_f32_16x16x32_fp8_fp8 v[72:75], a[78:79], a[38:39], v[72:75]// 000000003AE4: D3F30048 1D224D4E
	ds_read_b128 a[0:3], v2 offset:8320                        // 000000003AEC: DBFE2080 00000002
	ds_read_b128 a[4:7], v2 offset:8384                        // 000000003AF4: DBFE20C0 04000002
	v_mfma_f32_16x16x32_fp8_fp8 v[76:79], a[72:73], a[40:41], v[76:79]// 000000003AFC: D3F3004C 1D325148
	v_mfma_f32_16x16x32_fp8_fp8 v[76:79], a[74:75], a[42:43], v[76:79]// 000000003B04: D3F3004C 1D32554A
	buffer_load_dwordx4 a[68:71], v54, s[84:87], 0 offen offset:1024// 000000003B0C: E05C1400 80954436
	v_mfma_f32_16x16x32_fp8_fp8 v[76:79], a[76:77], a[44:45], v[76:79]// 000000003B14: D3F3004C 1D32594C
	v_mfma_f32_16x16x32_fp8_fp8 v[76:79], a[78:79], a[46:47], v[76:79]// 000000003B1C: D3F3004C 1D325D4E
	ds_read_b128 a[8:11], v2 offset:8832                       // 000000003B24: DBFE2280 08000002
	ds_read_b128 a[12:15], v2 offset:8896                      // 000000003B2C: DBFE22C0 0C000002
	v_mfma_f32_16x16x32_fp8_fp8 v[80:83], a[72:73], a[48:49], v[80:83]// 000000003B34: D3F30050 1D426148
	s_add_u32 s60, 0x180, s80                                  // 000000003B3C: 803C50FF 00000180
	s_cmp_lt_u32 s60, s81                                      // 000000003B44: BF0A513C
	s_cselect_b32 s57, s57, 0                                  // 000000003B48: 85398039
	v_mfma_f32_16x16x32_fp8_fp8 v[80:83], a[74:75], a[50:51], v[80:83]// 000000003B4C: D3F30050 1D42654A
	s_add_u32 s60, 0x100, s80                                  // 000000003B54: 803C50FF 00000100
	s_cmp_lt_u32 s60, s81                                      // 000000003B5C: BF0A513C
	s_cselect_b32 s58, s58, 0                                  // 000000003B60: 853A803A
	v_mfma_f32_16x16x32_fp8_fp8 v[80:83], a[76:77], a[52:53], v[80:83]// 000000003B64: D3F30050 1D42694C
	s_add_u32 s60, 0x100, s80                                  // 000000003B6C: 803C50FF 00000100
	s_cmp_lt_u32 s60, s81                                      // 000000003B74: BF0A513C
	s_cselect_b32 s83, s83, 0                                  // 000000003B78: 85538053
	v_mfma_f32_16x16x32_fp8_fp8 v[80:83], a[78:79], a[54:55], v[80:83]// 000000003B7C: D3F30050 1D426D4E
	ds_read_b128 a[16:19], v2 offset:9344                      // 000000003B84: DBFE2480 10000002
	ds_read_b128 a[20:23], v2 offset:9408                      // 000000003B8C: DBFE24C0 14000002
	s_add_u32 s24, s58, s24                                    // 000000003B94: 8018183A
	s_addc_u32 s25, 0, s25                                     // 000000003B98: 82191980
	v_mfma_f32_16x16x32_fp8_fp8 v[84:87], a[72:73], a[56:57], v[84:87]// 000000003B9C: D3F30054 1D527148
	s_add_u32 s20, s57, s20                                    // 000000003BA4: 80141439
	s_addc_u32 s21, 0, s21                                     // 000000003BA8: 82151580
	v_mfma_f32_16x16x32_fp8_fp8 v[84:87], a[74:75], a[58:59], v[84:87]// 000000003BAC: D3F30054 1D52754A
	s_add_u32 s84, s83, s84                                    // 000000003BB4: 80545453
	s_addc_u32 s85, 0, s85                                     // 000000003BB8: 82555580
	v_mfma_f32_16x16x32_fp8_fp8 v[84:87], a[76:77], a[60:61], v[84:87]// 000000003BBC: D3F30054 1D52794C
	v_mfma_f32_16x16x32_fp8_fp8 v[84:87], a[78:79], a[62:63], v[84:87]// 000000003BC4: D3F30054 1D527D4E
	ds_read_b128 a[24:27], v2 offset:9856                      // 000000003BCC: DBFE2680 18000002
	ds_read_b128 a[28:31], v2 offset:9920                      // 000000003BD4: DBFE26C0 1C000002
	s_addk_i32 s80, 0x80                                       // 000000003BDC: B7500080
	s_cmp_lt_i32 s80, s81                                      // 000000003BE0: BF045150
	s_cbranch_scc0 label_0599                                  // 000000003BE4: BF84011F
	s_waitcnt vmcnt(10) lgkmcnt(0)                             // 000000003BE8: BF8C007A
	v_mfma_f32_16x16x32_fp8_fp8 v[56:59], a[80:81], a[0:1], v[56:59]// 000000003BEC: D3F30038 1CE20150
	v_mfma_f32_16x16x32_fp8_fp8 v[56:59], a[82:83], a[2:3], v[56:59]// 000000003BF4: D3F30038 1CE20552
	buffer_load_dwordx4 a[72:75], v54, s[24:27], 0 offen       // 000000003BFC: E05C1000 80864836
	v_mfma_f32_16x16x32_fp8_fp8 v[56:59], a[84:85], a[4:5], v[56:59]// 000000003C04: D3F30038 1CE20954
	v_mfma_f32_16x16x32_fp8_fp8 v[56:59], a[86:87], a[6:7], v[56:59]// 000000003C0C: D3F30038 1CE20D56
	v_mfma_f32_16x16x32_fp8_fp8 v[60:63], a[80:81], a[8:9], v[60:63]// 000000003C14: D3F3003C 1CF21150
	v_mfma_f32_16x16x32_fp8_fp8 v[60:63], a[82:83], a[10:11], v[60:63]// 000000003C1C: D3F3003C 1CF21552
	buffer_load_dwordx4 a[76:79], v54, s[24:27], 0 offen offset:1024// 000000003C24: E05C1400 80864C36
	buffer_load_dword v46, s[20:23], 0 offen lds               // 000000003C2C: E0511000 8005002E
	s_add_u32 m0, 0x100, s48                                   // 000000003C34: 807C30FF 00000100
	v_mfma_f32_16x16x32_fp8_fp8 v[60:63], a[84:85], a[12:13], v[60:63]// 000000003C3C: D3F3003C 1CF21954
	v_mfma_f32_16x16x32_fp8_fp8 v[60:63], a[86:87], a[14:15], v[60:63]// 000000003C44: D3F3003C 1CF21D56
	buffer_load_dword v47, s[20:23], 0 offen lds               // 000000003C4C: E0511000 8005002F
	s_add_u32 m0, 0x200, s48                                   // 000000003C54: 807C30FF 00000200
	v_mfma_f32_16x16x32_fp8_fp8 v[64:67], a[80:81], a[16:17], v[64:67]// 000000003C5C: D3F30040 1D022150
	v_mfma_f32_16x16x32_fp8_fp8 v[64:67], a[82:83], a[18:19], v[64:67]// 000000003C64: D3F30040 1D022552
	buffer_load_dword v48, s[20:23], 0 offen lds               // 000000003C6C: E0511000 80050030
	s_add_u32 m0, 0x300, s48                                   // 000000003C74: 807C30FF 00000300
	v_mfma_f32_16x16x32_fp8_fp8 v[64:67], a[84:85], a[20:21], v[64:67]// 000000003C7C: D3F30040 1D022954
	v_mfma_f32_16x16x32_fp8_fp8 v[64:67], a[86:87], a[22:23], v[64:67]// 000000003C84: D3F30040 1D022D56
	buffer_load_dword v49, s[20:23], 0 offen lds               // 000000003C8C: E0511000 80050031
	s_add_u32 m0, 0x400, s48                                   // 000000003C94: 807C30FF 00000400
	v_mfma_f32_16x16x32_fp8_fp8 v[68:71], a[80:81], a[24:25], v[68:71]// 000000003C9C: D3F30044 1D123150
	v_mfma_f32_16x16x32_fp8_fp8 v[68:71], a[82:83], a[26:27], v[68:71]// 000000003CA4: D3F30044 1D123552
	buffer_load_dword v50, s[20:23], 0 offen lds               // 000000003CAC: E0511000 80050032
	s_add_u32 m0, 0x500, s48                                   // 000000003CB4: 807C30FF 00000500
	v_mfma_f32_16x16x32_fp8_fp8 v[68:71], a[84:85], a[28:29], v[68:71]// 000000003CBC: D3F30044 1D123954
	v_mfma_f32_16x16x32_fp8_fp8 v[68:71], a[86:87], a[30:31], v[68:71]// 000000003CC4: D3F30044 1D123D56
	buffer_load_dword v51, s[20:23], 0 offen lds               // 000000003CCC: E0511000 80050033
	s_add_u32 m0, 0x600, s48                                   // 000000003CD4: 807C30FF 00000600
	buffer_load_dword v52, s[20:23], 0 offen lds               // 000000003CDC: E0511000 80050034
	s_add_u32 m0, 0x700, s48                                   // 000000003CE4: 807C30FF 00000700
	buffer_load_dword v53, s[20:23], 0 offen lds               // 000000003CEC: E0511000 80050035
	s_add_u32 m0, 0, s49                                       // 000000003CF4: 807C3180
	s_waitcnt vmcnt(10)                                        // 000000003CF8: BF8C0F7A
	s_barrier                                                  // 000000003CFC: BF8A0000
	v_mfma_f32_16x16x32_fp8_fp8 v[72:75], a[64:65], a[0:1], v[72:75]// 000000003D00: D3F30048 1D220140
	v_mfma_f32_16x16x32_fp8_fp8 v[72:75], a[66:67], a[2:3], v[72:75]// 000000003D08: D3F30048 1D220542
	buffer_load_dwordx4 a[80:83], v54, s[84:87], 0 offen       // 000000003D10: E05C1000 80955036
	v_mfma_f32_16x16x32_fp8_fp8 v[72:75], a[68:69], a[4:5], v[72:75]// 000000003D18: D3F30048 1D220944
	v_mfma_f32_16x16x32_fp8_fp8 v[72:75], a[70:71], a[6:7], v[72:75]// 000000003D20: D3F30048 1D220D46
	ds_read_b128 a[32:35], v2 offset:16640                     // 000000003D28: DBFE4100 20000002
	ds_read_b128 a[36:39], v2 offset:16704                     // 000000003D30: DBFE4140 24000002
	v_mfma_f32_16x16x32_fp8_fp8 v[76:79], a[64:65], a[8:9], v[76:79]// 000000003D38: D3F3004C 1D321140
	v_mfma_f32_16x16x32_fp8_fp8 v[76:79], a[66:67], a[10:11], v[76:79]// 000000003D40: D3F3004C 1D321542
	buffer_load_dwordx4 a[84:87], v54, s[84:87], 0 offen offset:1024// 000000003D48: E05C1400 80955436
	v_mfma_f32_16x16x32_fp8_fp8 v[76:79], a[68:69], a[12:13], v[76:79]// 000000003D50: D3F3004C 1D321944
	v_mfma_f32_16x16x32_fp8_fp8 v[76:79], a[70:71], a[14:15], v[76:79]// 000000003D58: D3F3004C 1D321D46
	ds_read_b128 a[40:43], v2 offset:17152                     // 000000003D60: DBFE4300 28000002
	ds_read_b128 a[44:47], v2 offset:17216                     // 000000003D68: DBFE4340 2C000002
	v_mfma_f32_16x16x32_fp8_fp8 v[80:83], a[64:65], a[16:17], v[80:83]// 000000003D70: D3F30050 1D422140
	s_add_u32 s60, 0x180, s80                                  // 000000003D78: 803C50FF 00000180
	s_cmp_lt_u32 s60, s81                                      // 000000003D80: BF0A513C
	s_cselect_b32 s57, s57, 0                                  // 000000003D84: 85398039
	v_mfma_f32_16x16x32_fp8_fp8 v[80:83], a[66:67], a[18:19], v[80:83]// 000000003D88: D3F30050 1D422542
	s_add_u32 s60, 0x100, s80                                  // 000000003D90: 803C50FF 00000100
	s_cmp_lt_u32 s60, s81                                      // 000000003D98: BF0A513C
	s_cselect_b32 s58, s58, 0                                  // 000000003D9C: 853A803A
	v_mfma_f32_16x16x32_fp8_fp8 v[80:83], a[68:69], a[20:21], v[80:83]// 000000003DA0: D3F30050 1D422944
	s_add_u32 s60, 0x100, s80                                  // 000000003DA8: 803C50FF 00000100
	s_cmp_lt_u32 s60, s81                                      // 000000003DB0: BF0A513C
	s_cselect_b32 s83, s83, 0                                  // 000000003DB4: 85538053
	v_mfma_f32_16x16x32_fp8_fp8 v[80:83], a[70:71], a[22:23], v[80:83]// 000000003DB8: D3F30050 1D422D46
	ds_read_b128 a[48:51], v2 offset:17664                     // 000000003DC0: DBFE4500 30000002
	ds_read_b128 a[52:55], v2 offset:17728                     // 000000003DC8: DBFE4540 34000002
	s_add_u32 s24, s58, s24                                    // 000000003DD0: 8018183A
	s_addc_u32 s25, 0, s25                                     // 000000003DD4: 82191980
	v_mfma_f32_16x16x32_fp8_fp8 v[84:87], a[64:65], a[24:25], v[84:87]// 000000003DD8: D3F30054 1D523140
	s_add_u32 s20, s57, s20                                    // 000000003DE0: 80141439
	s_addc_u32 s21, 0, s21                                     // 000000003DE4: 82151580
	v_mfma_f32_16x16x32_fp8_fp8 v[84:87], a[66:67], a[26:27], v[84:87]// 000000003DE8: D3F30054 1D523542
	s_add_u32 s84, s83, s84                                    // 000000003DF0: 80545453
	s_addc_u32 s85, 0, s85                                     // 000000003DF4: 82555580
	v_mfma_f32_16x16x32_fp8_fp8 v[84:87], a[68:69], a[28:29], v[84:87]// 000000003DF8: D3F30054 1D523944
	v_mfma_f32_16x16x32_fp8_fp8 v[84:87], a[70:71], a[30:31], v[84:87]// 000000003E00: D3F30054 1D523D46
	ds_read_b128 a[56:59], v2 offset:18176                     // 000000003E08: DBFE4700 38000002
	ds_read_b128 a[60:63], v2 offset:18240                     // 000000003E10: DBFE4740 3C000002
	s_addk_i32 s80, 0x80                                       // 000000003E18: B7500080
	s_cmp_lt_i32 s80, s81                                      // 000000003E1C: BF045150
	s_cbranch_scc0 label_0599                                  // 000000003E20: BF840090
	s_waitcnt vmcnt(10) lgkmcnt(0)                             // 000000003E24: BF8C007A
	v_mfma_f32_16x16x32_fp8_fp8 v[56:59], a[72:73], a[32:33], v[56:59]// 000000003E28: D3F30038 1CE24148
	v_mfma_f32_16x16x32_fp8_fp8 v[56:59], a[74:75], a[34:35], v[56:59]// 000000003E30: D3F30038 1CE2454A
	buffer_load_dwordx4 a[64:67], v54, s[24:27], 0 offen       // 000000003E38: E05C1000 80864036
	v_mfma_f32_16x16x32_fp8_fp8 v[56:59], a[76:77], a[36:37], v[56:59]// 000000003E40: D3F30038 1CE2494C
	v_mfma_f32_16x16x32_fp8_fp8 v[56:59], a[78:79], a[38:39], v[56:59]// 000000003E48: D3F30038 1CE24D4E
	v_mfma_f32_16x16x32_fp8_fp8 v[60:63], a[72:73], a[40:41], v[60:63]// 000000003E50: D3F3003C 1CF25148
	v_mfma_f32_16x16x32_fp8_fp8 v[60:63], a[74:75], a[42:43], v[60:63]// 000000003E58: D3F3003C 1CF2554A
	buffer_load_dwordx4 a[68:71], v54, s[24:27], 0 offen offset:1024// 000000003E60: E05C1400 80864436
	buffer_load_dword v46, s[20:23], 0 offen lds               // 000000003E68: E0511000 8005002E
	s_add_u32 m0, 0x100, s49                                   // 000000003E70: 807C31FF 00000100
	v_mfma_f32_16x16x32_fp8_fp8 v[60:63], a[76:77], a[44:45], v[60:63]// 000000003E78: D3F3003C 1CF2594C
	v_mfma_f32_16x16x32_fp8_fp8 v[60:63], a[78:79], a[46:47], v[60:63]// 000000003E80: D3F3003C 1CF25D4E
	buffer_load_dword v47, s[20:23], 0 offen lds               // 000000003E88: E0511000 8005002F
	s_add_u32 m0, 0x200, s49                                   // 000000003E90: 807C31FF 00000200
	v_mfma_f32_16x16x32_fp8_fp8 v[64:67], a[72:73], a[48:49], v[64:67]// 000000003E98: D3F30040 1D026148
	v_mfma_f32_16x16x32_fp8_fp8 v[64:67], a[74:75], a[50:51], v[64:67]// 000000003EA0: D3F30040 1D02654A
	buffer_load_dword v48, s[20:23], 0 offen lds               // 000000003EA8: E0511000 80050030
	s_add_u32 m0, 0x300, s49                                   // 000000003EB0: 807C31FF 00000300
	v_mfma_f32_16x16x32_fp8_fp8 v[64:67], a[76:77], a[52:53], v[64:67]// 000000003EB8: D3F30040 1D02694C
	v_mfma_f32_16x16x32_fp8_fp8 v[64:67], a[78:79], a[54:55], v[64:67]// 000000003EC0: D3F30040 1D026D4E
	buffer_load_dword v49, s[20:23], 0 offen lds               // 000000003EC8: E0511000 80050031
	s_add_u32 m0, 0x400, s49                                   // 000000003ED0: 807C31FF 00000400
	v_mfma_f32_16x16x32_fp8_fp8 v[68:71], a[72:73], a[56:57], v[68:71]// 000000003ED8: D3F30044 1D127148
	v_mfma_f32_16x16x32_fp8_fp8 v[68:71], a[74:75], a[58:59], v[68:71]// 000000003EE0: D3F30044 1D12754A
	buffer_load_dword v50, s[20:23], 0 offen lds               // 000000003EE8: E0511000 80050032
	s_add_u32 m0, 0x500, s49                                   // 000000003EF0: 807C31FF 00000500
	v_mfma_f32_16x16x32_fp8_fp8 v[68:71], a[76:77], a[60:61], v[68:71]// 000000003EF8: D3F30044 1D12794C
	v_mfma_f32_16x16x32_fp8_fp8 v[68:71], a[78:79], a[62:63], v[68:71]// 000000003F00: D3F30044 1D127D4E
	buffer_load_dword v51, s[20:23], 0 offen lds               // 000000003F08: E0511000 80050033
	s_add_u32 m0, 0x600, s49                                   // 000000003F10: 807C31FF 00000600
	buffer_load_dword v52, s[20:23], 0 offen lds               // 000000003F18: E0511000 80050034
	s_add_u32 m0, 0x700, s49                                   // 000000003F20: 807C31FF 00000700
	buffer_load_dword v53, s[20:23], 0 offen lds               // 000000003F28: E0511000 80050035
	s_add_u32 m0, 0, s50                                       // 000000003F30: 807C3280
	s_waitcnt vmcnt(10)                                        // 000000003F34: BF8C0F7A
	s_barrier                                                  // 000000003F38: BF8A0000
	v_mfma_f32_16x16x32_fp8_fp8 v[72:75], a[80:81], a[32:33], v[72:75]// 000000003F3C: D3F30048 1D224150
	v_mfma_f32_16x16x32_fp8_fp8 v[72:75], a[82:83], a[34:35], v[72:75]// 000000003F44: D3F30048 1D224552
	buffer_load_dwordx4 a[72:75], v54, s[84:87], 0 offen       // 000000003F4C: E05C1000 80954836
	v_mfma_f32_16x16x32_fp8_fp8 v[72:75], a[84:85], a[36:37], v[72:75]// 000000003F54: D3F30048 1D224954
	v_mfma_f32_16x16x32_fp8_fp8 v[72:75], a[86:87], a[38:39], v[72:75]// 000000003F5C: D3F30048 1D224D56
	ds_read_b128 a[0:3], v2                                    // 000000003F64: DBFE0000 00000002
	ds_read_b128 a[4:7], v2 offset:64                          // 000000003F6C: DBFE0040 04000002
	v_mfma_f32_16x16x32_fp8_fp8 v[76:79], a[80:81], a[40:41], v[76:79]// 000000003F74: D3F3004C 1D325150
	v_mfma_f32_16x16x32_fp8_fp8 v[76:79], a[82:83], a[42:43], v[76:79]// 000000003F7C: D3F3004C 1D325552
	buffer_load_dwordx4 a[76:79], v54, s[84:87], 0 offen offset:1024// 000000003F84: E05C1400 80954C36
	v_mfma_f32_16x16x32_fp8_fp8 v[76:79], a[84:85], a[44:45], v[76:79]// 000000003F8C: D3F3004C 1D325954
	v_mfma_f32_16x16x32_fp8_fp8 v[76:79], a[86:87], a[46:47], v[76:79]// 000000003F94: D3F3004C 1D325D56
	ds_read_b128 a[8:11], v2 offset:512                        // 000000003F9C: DBFE0200 08000002
	ds_read_b128 a[12:15], v2 offset:576                       // 000000003FA4: DBFE0240 0C000002
	v_mfma_f32_16x16x32_fp8_fp8 v[80:83], a[80:81], a[48:49], v[80:83]// 000000003FAC: D3F30050 1D426150
	s_add_u32 s60, 0x180, s80                                  // 000000003FB4: 803C50FF 00000180
	s_cmp_lt_u32 s60, s81                                      // 000000003FBC: BF0A513C
	s_cselect_b32 s57, s57, 0                                  // 000000003FC0: 85398039
	v_mfma_f32_16x16x32_fp8_fp8 v[80:83], a[82:83], a[50:51], v[80:83]// 000000003FC4: D3F30050 1D426552
	s_add_u32 s60, 0x100, s80                                  // 000000003FCC: 803C50FF 00000100
	s_cmp_lt_u32 s60, s81                                      // 000000003FD4: BF0A513C
	s_cselect_b32 s58, s58, 0                                  // 000000003FD8: 853A803A
	v_mfma_f32_16x16x32_fp8_fp8 v[80:83], a[84:85], a[52:53], v[80:83]// 000000003FDC: D3F30050 1D426954
	s_add_u32 s60, 0x100, s80                                  // 000000003FE4: 803C50FF 00000100
	s_cmp_lt_u32 s60, s81                                      // 000000003FEC: BF0A513C
	s_cselect_b32 s83, s83, 0                                  // 000000003FF0: 85538053
	v_mfma_f32_16x16x32_fp8_fp8 v[80:83], a[86:87], a[54:55], v[80:83]// 000000003FF4: D3F30050 1D426D56
	ds_read_b128 a[16:19], v2 offset:1024                      // 000000003FFC: DBFE0400 10000002
	ds_read_b128 a[20:23], v2 offset:1088                      // 000000004004: DBFE0440 14000002
	s_add_u32 s24, s58, s24                                    // 00000000400C: 8018183A
	s_addc_u32 s25, 0, s25                                     // 000000004010: 82191980
	v_mfma_f32_16x16x32_fp8_fp8 v[84:87], a[80:81], a[56:57], v[84:87]// 000000004014: D3F30054 1D527150
	s_add_u32 s20, s57, s20                                    // 00000000401C: 80141439
	s_addc_u32 s21, 0, s21                                     // 000000004020: 82151580
	v_mfma_f32_16x16x32_fp8_fp8 v[84:87], a[82:83], a[58:59], v[84:87]// 000000004024: D3F30054 1D527552
	s_add_u32 s84, s83, s84                                    // 00000000402C: 80545453
	s_addc_u32 s85, 0, s85                                     // 000000004030: 82555580
	v_mfma_f32_16x16x32_fp8_fp8 v[84:87], a[84:85], a[60:61], v[84:87]// 000000004034: D3F30054 1D527954
	v_mfma_f32_16x16x32_fp8_fp8 v[84:87], a[86:87], a[62:63], v[84:87]// 00000000403C: D3F30054 1D527D56
	ds_read_b128 a[24:27], v2 offset:1536                      // 000000004044: DBFE0600 18000002
	ds_read_b128 a[28:31], v2 offset:1600                      // 00000000404C: DBFE0640 1C000002
	s_addk_i32 s80, 0x80                                       // 000000004054: B7500080
	s_cmp_lt_i32 s80, s81                                      // 000000004058: BF045150
	s_cbranch_scc0 label_0599                                  // 00000000405C: BF840001
	s_branch label_023E                                        // 000000004060: BF82FCA5

0000000000004064 <label_0599>:
	v_mul_f32_dpp v56, v24, v56 row_newbcast:0 row_mask:0xf bank_mask:0xf// 000000004064: 0A7070FA FF015018
	v_mul_f32_dpp v57, v24, v57 row_newbcast:1 row_mask:0xf bank_mask:0xf// 00000000406C: 0A7272FA FF015118
	v_mul_f32_dpp v58, v24, v58 row_newbcast:2 row_mask:0xf bank_mask:0xf// 000000004074: 0A7474FA FF015218
	v_mul_f32_dpp v59, v24, v59 row_newbcast:3 row_mask:0xf bank_mask:0xf// 00000000407C: 0A7676FA FF015318
	v_mul_f32_dpp v60, v24, v60 row_newbcast:0 row_mask:0xf bank_mask:0xf// 000000004084: 0A7878FA FF015018
	v_mul_f32_dpp v61, v24, v61 row_newbcast:1 row_mask:0xf bank_mask:0xf// 00000000408C: 0A7A7AFA FF015118
	v_mul_f32_dpp v62, v24, v62 row_newbcast:2 row_mask:0xf bank_mask:0xf// 000000004094: 0A7C7CFA FF015218
	v_mul_f32_dpp v63, v24, v63 row_newbcast:3 row_mask:0xf bank_mask:0xf// 00000000409C: 0A7E7EFA FF015318
	v_mul_f32_dpp v64, v24, v64 row_newbcast:0 row_mask:0xf bank_mask:0xf// 0000000040A4: 0A8080FA FF015018
	v_mul_f32_dpp v65, v24, v65 row_newbcast:1 row_mask:0xf bank_mask:0xf// 0000000040AC: 0A8282FA FF015118
	v_mul_f32_dpp v66, v24, v66 row_newbcast:2 row_mask:0xf bank_mask:0xf// 0000000040B4: 0A8484FA FF015218
	v_mul_f32_dpp v67, v24, v67 row_newbcast:3 row_mask:0xf bank_mask:0xf// 0000000040BC: 0A8686FA FF015318
	v_mul_f32_dpp v68, v24, v68 row_newbcast:0 row_mask:0xf bank_mask:0xf// 0000000040C4: 0A8888FA FF015018
	v_mul_f32_dpp v69, v24, v69 row_newbcast:1 row_mask:0xf bank_mask:0xf// 0000000040CC: 0A8A8AFA FF015118
	v_mul_f32_dpp v70, v24, v70 row_newbcast:2 row_mask:0xf bank_mask:0xf// 0000000040D4: 0A8C8CFA FF015218
	v_mul_f32_dpp v71, v24, v71 row_newbcast:3 row_mask:0xf bank_mask:0xf// 0000000040DC: 0A8E8EFA FF015318
	v_mul_f32_dpp v72, v27, v72 row_newbcast:0 row_mask:0xf bank_mask:0xf// 0000000040E4: 0A9090FA FF01501B
	v_mul_f32_dpp v73, v27, v73 row_newbcast:1 row_mask:0xf bank_mask:0xf// 0000000040EC: 0A9292FA FF01511B
	v_mul_f32_dpp v74, v27, v74 row_newbcast:2 row_mask:0xf bank_mask:0xf// 0000000040F4: 0A9494FA FF01521B
	v_mul_f32_dpp v75, v27, v75 row_newbcast:3 row_mask:0xf bank_mask:0xf// 0000000040FC: 0A9696FA FF01531B
	v_mul_f32_dpp v76, v27, v76 row_newbcast:0 row_mask:0xf bank_mask:0xf// 000000004104: 0A9898FA FF01501B
	v_mul_f32_dpp v77, v27, v77 row_newbcast:1 row_mask:0xf bank_mask:0xf// 00000000410C: 0A9A9AFA FF01511B
	v_mul_f32_dpp v78, v27, v78 row_newbcast:2 row_mask:0xf bank_mask:0xf// 000000004114: 0A9C9CFA FF01521B
	v_mul_f32_dpp v79, v27, v79 row_newbcast:3 row_mask:0xf bank_mask:0xf// 00000000411C: 0A9E9EFA FF01531B
	v_mul_f32_dpp v80, v27, v80 row_newbcast:0 row_mask:0xf bank_mask:0xf// 000000004124: 0AA0A0FA FF01501B
	v_mul_f32_dpp v81, v27, v81 row_newbcast:1 row_mask:0xf bank_mask:0xf// 00000000412C: 0AA2A2FA FF01511B
	v_mul_f32_dpp v82, v27, v82 row_newbcast:2 row_mask:0xf bank_mask:0xf// 000000004134: 0AA4A4FA FF01521B
	v_mul_f32_dpp v83, v27, v83 row_newbcast:3 row_mask:0xf bank_mask:0xf// 00000000413C: 0AA6A6FA FF01531B
	v_mul_f32_dpp v84, v27, v84 row_newbcast:0 row_mask:0xf bank_mask:0xf// 000000004144: 0AA8A8FA FF01501B
	v_mul_f32_dpp v85, v27, v85 row_newbcast:1 row_mask:0xf bank_mask:0xf// 00000000414C: 0AAAAAFA FF01511B
	v_mul_f32_dpp v86, v27, v86 row_newbcast:2 row_mask:0xf bank_mask:0xf// 000000004154: 0AACACFA FF01521B
	v_mul_f32_dpp v87, v27, v87 row_newbcast:3 row_mask:0xf bank_mask:0xf// 00000000415C: 0AAEAEFA FF01531B
	v_mov_b32_e32 v4, v34                                      // 000000004164: 7E080322
	v_mov_b32_e32 v5, v4                                       // 000000004168: 7E0A0304
	v_pk_mul_f32 v[56:57], v[4:5], v[56:57]                    // 00000000416C: D3B14038 18027104
	v_pk_mul_f32 v[72:73], v[4:5], v[72:73]                    // 000000004174: D3B14048 18029104
	v_pk_mul_f32 v[58:59], v[4:5], v[58:59]                    // 00000000417C: D3B1403A 18027504
	v_pk_mul_f32 v[74:75], v[4:5], v[74:75]                    // 000000004184: D3B1404A 18029504
	v_mov_b32_e32 v4, v35                                      // 00000000418C: 7E080323
	v_mov_b32_e32 v5, v4                                       // 000000004190: 7E0A0304
	v_pk_mul_f32 v[60:61], v[4:5], v[60:61]                    // 000000004194: D3B1403C 18027904
	v_pk_mul_f32 v[76:77], v[4:5], v[76:77]                    // 00000000419C: D3B1404C 18029904
	v_pk_mul_f32 v[62:63], v[4:5], v[62:63]                    // 0000000041A4: D3B1403E 18027D04
	v_pk_mul_f32 v[78:79], v[4:5], v[78:79]                    // 0000000041AC: D3B1404E 18029D04
	v_mov_b32_e32 v4, v36                                      // 0000000041B4: 7E080324
	v_mov_b32_e32 v5, v4                                       // 0000000041B8: 7E0A0304
	v_pk_mul_f32 v[64:65], v[4:5], v[64:65]                    // 0000000041BC: D3B14040 18028104
	v_pk_mul_f32 v[80:81], v[4:5], v[80:81]                    // 0000000041C4: D3B14050 1802A104
	v_pk_mul_f32 v[66:67], v[4:5], v[66:67]                    // 0000000041CC: D3B14042 18028504
	v_pk_mul_f32 v[82:83], v[4:5], v[82:83]                    // 0000000041D4: D3B14052 1802A504
	v_mov_b32_e32 v4, v37                                      // 0000000041DC: 7E080325
	v_mov_b32_e32 v5, v4                                       // 0000000041E0: 7E0A0304
	v_pk_mul_f32 v[68:69], v[4:5], v[68:69]                    // 0000000041E4: D3B14044 18028904
	v_pk_mul_f32 v[84:85], v[4:5], v[84:85]                    // 0000000041EC: D3B14054 1802A904
	v_pk_mul_f32 v[70:71], v[4:5], v[70:71]                    // 0000000041F4: D3B14046 18028D04
	v_pk_mul_f32 v[86:87], v[4:5], v[86:87]                    // 0000000041FC: D3B14056 1802AD04
	s_cmp_eq_u32 s88, 0                                        // 000000004204: BF068058
	s_cbranch_scc0 label_090C                                  // 000000004208: BF840309
	s_cmp_eq_u32 s89, 0                                        // 00000000420C: BF068059
	s_cbranch_scc1 label_06AA                                  // 000000004210: BF8500A5
	v_mov_b32_e32 v8, v1                                       // 000000004214: 7E100301
	v_mov_b32_e32 v9, v1                                       // 000000004218: 7E120301
	s_mov_b32 s60, s6                                          // 00000000421C: BEBC0006
	s_mov_b32 s61, s6                                          // 000000004220: BEBD0006
	v_pk_mul_f32 v[4:5], v[56:57], v[56:57]                    // 000000004224: D3B14004 18027138
	v_pk_mul_f32 v[6:7], v[58:59], v[58:59]                    // 00000000422C: D3B14006 1802753A
	v_pk_fma_f32 v[4:5], v[4:5], s[78:79], v[8:9]              // 000000004234: D3B04004 1C209D04
	v_pk_fma_f32 v[6:7], v[6:7], s[78:79], v[8:9]              // 00000000423C: D3B04006 1C209D06
	v_pk_mul_f32 v[4:5], v[4:5], v[56:57]                      // 000000004244: D3B14004 18027104
	v_pk_mul_f32 v[6:7], v[6:7], v[58:59]                      // 00000000424C: D3B14006 18027506
	v_pk_mul_f32 v[4:5], v[4:5], s[60:61]                      // 000000004254: D3B14004 18007904
	v_pk_mul_f32 v[6:7], v[6:7], s[60:61]                      // 00000000425C: D3B14006 18007906
	v_exp_f32_e32 v4, v4                                       // 000000004264: 7E084104
	v_exp_f32_e32 v5, v5                                       // 000000004268: 7E0A4105
	v_exp_f32_e32 v6, v6                                       // 00000000426C: 7E0C4106
	v_exp_f32_e32 v7, v7                                       // 000000004270: 7E0E4107
	v_add_f32_e64 v4, v4, 1.0                                  // 000000004274: D1010004 0001E504
	v_add_f32_e64 v5, v5, 1.0                                  // 00000000427C: D1010005 0001E505
	v_add_f32_e64 v6, v6, 1.0                                  // 000000004284: D1010006 0001E506
	v_add_f32_e64 v7, v7, 1.0                                  // 00000000428C: D1010007 0001E507
	v_rcp_f32_e32 v4, v4                                       // 000000004294: 7E084504
	v_rcp_f32_e32 v5, v5                                       // 000000004298: 7E0A4505
	v_rcp_f32_e32 v6, v6                                       // 00000000429C: 7E0C4506
	v_rcp_f32_e32 v7, v7                                       // 0000000042A0: 7E0E4507
	v_mul_f32_e32 v56, v56, v4                                 // 0000000042A4: 0A700938
	v_mul_f32_e32 v57, v57, v5                                 // 0000000042A8: 0A720B39
	v_mul_f32_e32 v58, v58, v6                                 // 0000000042AC: 0A740D3A
	v_mul_f32_e32 v59, v59, v7                                 // 0000000042B0: 0A760F3B
	v_mul_f32_e32 v56, v56, v72                                // 0000000042B4: 0A709138
	v_mul_f32_e32 v57, v57, v73                                // 0000000042B8: 0A729339
	v_mul_f32_e32 v58, v58, v74                                // 0000000042BC: 0A74953A
	v_mul_f32_e32 v59, v59, v75                                // 0000000042C0: 0A76973B
	v_pk_mul_f32 v[4:5], v[60:61], v[60:61]                    // 0000000042C4: D3B14004 1802793C
	v_pk_mul_f32 v[6:7], v[62:63], v[62:63]                    // 0000000042CC: D3B14006 18027D3E
	v_pk_fma_f32 v[4:5], v[4:5], s[78:79], v[8:9]              // 0000000042D4: D3B04004 1C209D04
	v_pk_fma_f32 v[6:7], v[6:7], s[78:79], v[8:9]              // 0000000042DC: D3B04006 1C209D06
	v_pk_mul_f32 v[4:5], v[4:5], v[60:61]                      // 0000000042E4: D3B14004 18027904
	v_pk_mul_f32 v[6:7], v[6:7], v[62:63]                      // 0000000042EC: D3B14006 18027D06
	v_pk_mul_f32 v[4:5], v[4:5], s[60:61]                      // 0000000042F4: D3B14004 18007904
	v_pk_mul_f32 v[6:7], v[6:7], s[60:61]                      // 0000000042FC: D3B14006 18007906
	v_exp_f32_e32 v4, v4                                       // 000000004304: 7E084104
	v_exp_f32_e32 v5, v5                                       // 000000004308: 7E0A4105
	v_exp_f32_e32 v6, v6                                       // 00000000430C: 7E0C4106
	v_exp_f32_e32 v7, v7                                       // 000000004310: 7E0E4107
	v_add_f32_e64 v4, v4, 1.0                                  // 000000004314: D1010004 0001E504
	v_add_f32_e64 v5, v5, 1.0                                  // 00000000431C: D1010005 0001E505
	v_add_f32_e64 v6, v6, 1.0                                  // 000000004324: D1010006 0001E506
	v_add_f32_e64 v7, v7, 1.0                                  // 00000000432C: D1010007 0001E507
	v_rcp_f32_e32 v4, v4                                       // 000000004334: 7E084504
	v_rcp_f32_e32 v5, v5                                       // 000000004338: 7E0A4505
	v_rcp_f32_e32 v6, v6                                       // 00000000433C: 7E0C4506
	v_rcp_f32_e32 v7, v7                                       // 000000004340: 7E0E4507
	v_mul_f32_e32 v60, v60, v4                                 // 000000004344: 0A78093C
	v_mul_f32_e32 v61, v61, v5                                 // 000000004348: 0A7A0B3D
	v_mul_f32_e32 v62, v62, v6                                 // 00000000434C: 0A7C0D3E
	v_mul_f32_e32 v63, v63, v7                                 // 000000004350: 0A7E0F3F
	v_mul_f32_e32 v60, v60, v76                                // 000000004354: 0A78993C
	v_mul_f32_e32 v61, v61, v77                                // 000000004358: 0A7A9B3D
	v_mul_f32_e32 v62, v62, v78                                // 00000000435C: 0A7C9D3E
	v_mul_f32_e32 v63, v63, v79                                // 000000004360: 0A7E9F3F
	v_pk_mul_f32 v[4:5], v[64:65], v[64:65]                    // 000000004364: D3B14004 18028140
	v_pk_mul_f32 v[6:7], v[66:67], v[66:67]                    // 00000000436C: D3B14006 18028542
	v_pk_fma_f32 v[4:5], v[4:5], s[78:79], v[8:9]              // 000000004374: D3B04004 1C209D04
	v_pk_fma_f32 v[6:7], v[6:7], s[78:79], v[8:9]              // 00000000437C: D3B04006 1C209D06
	v_pk_mul_f32 v[4:5], v[4:5], v[64:65]                      // 000000004384: D3B14004 18028104
	v_pk_mul_f32 v[6:7], v[6:7], v[66:67]                      // 00000000438C: D3B14006 18028506
	v_pk_mul_f32 v[4:5], v[4:5], s[60:61]                      // 000000004394: D3B14004 18007904
	v_pk_mul_f32 v[6:7], v[6:7], s[60:61]                      // 00000000439C: D3B14006 18007906
	v_exp_f32_e32 v4, v4                                       // 0000000043A4: 7E084104
	v_exp_f32_e32 v5, v5                                       // 0000000043A8: 7E0A4105
	v_exp_f32_e32 v6, v6                                       // 0000000043AC: 7E0C4106
	v_exp_f32_e32 v7, v7                                       // 0000000043B0: 7E0E4107
	v_add_f32_e64 v4, v4, 1.0                                  // 0000000043B4: D1010004 0001E504
	v_add_f32_e64 v5, v5, 1.0                                  // 0000000043BC: D1010005 0001E505
	v_add_f32_e64 v6, v6, 1.0                                  // 0000000043C4: D1010006 0001E506
	v_add_f32_e64 v7, v7, 1.0                                  // 0000000043CC: D1010007 0001E507
	v_rcp_f32_e32 v4, v4                                       // 0000000043D4: 7E084504
	v_rcp_f32_e32 v5, v5                                       // 0000000043D8: 7E0A4505
	v_rcp_f32_e32 v6, v6                                       // 0000000043DC: 7E0C4506
	v_rcp_f32_e32 v7, v7                                       // 0000000043E0: 7E0E4507
	v_mul_f32_e32 v64, v64, v4                                 // 0000000043E4: 0A800940
	v_mul_f32_e32 v65, v65, v5                                 // 0000000043E8: 0A820B41
	v_mul_f32_e32 v66, v66, v6                                 // 0000000043EC: 0A840D42
	v_mul_f32_e32 v67, v67, v7                                 // 0000000043F0: 0A860F43
	v_mul_f32_e32 v64, v64, v80                                // 0000000043F4: 0A80A140
	v_mul_f32_e32 v65, v65, v81                                // 0000000043F8: 0A82A341
	v_mul_f32_e32 v66, v66, v82                                // 0000000043FC: 0A84A542
	v_mul_f32_e32 v67, v67, v83                                // 000000004400: 0A86A743
	v_pk_mul_f32 v[4:5], v[68:69], v[68:69]                    // 000000004404: D3B14004 18028944
	v_pk_mul_f32 v[6:7], v[70:71], v[70:71]                    // 00000000440C: D3B14006 18028D46
	v_pk_fma_f32 v[4:5], v[4:5], s[78:79], v[8:9]              // 000000004414: D3B04004 1C209D04
	v_pk_fma_f32 v[6:7], v[6:7], s[78:79], v[8:9]              // 00000000441C: D3B04006 1C209D06
	v_pk_mul_f32 v[4:5], v[4:5], v[68:69]                      // 000000004424: D3B14004 18028904
	v_pk_mul_f32 v[6:7], v[6:7], v[70:71]                      // 00000000442C: D3B14006 18028D06
	v_pk_mul_f32 v[4:5], v[4:5], s[60:61]                      // 000000004434: D3B14004 18007904
	v_pk_mul_f32 v[6:7], v[6:7], s[60:61]                      // 00000000443C: D3B14006 18007906
	v_exp_f32_e32 v4, v4                                       // 000000004444: 7E084104
	v_exp_f32_e32 v5, v5                                       // 000000004448: 7E0A4105
	v_exp_f32_e32 v6, v6                                       // 00000000444C: 7E0C4106
	v_exp_f32_e32 v7, v7                                       // 000000004450: 7E0E4107
	v_add_f32_e64 v4, v4, 1.0                                  // 000000004454: D1010004 0001E504
	v_add_f32_e64 v5, v5, 1.0                                  // 00000000445C: D1010005 0001E505
	v_add_f32_e64 v6, v6, 1.0                                  // 000000004464: D1010006 0001E506
	v_add_f32_e64 v7, v7, 1.0                                  // 00000000446C: D1010007 0001E507
	v_rcp_f32_e32 v4, v4                                       // 000000004474: 7E084504
	v_rcp_f32_e32 v5, v5                                       // 000000004478: 7E0A4505
	v_rcp_f32_e32 v6, v6                                       // 00000000447C: 7E0C4506
	v_rcp_f32_e32 v7, v7                                       // 000000004480: 7E0E4507
	v_mul_f32_e32 v68, v68, v4                                 // 000000004484: 0A880944
	v_mul_f32_e32 v69, v69, v5                                 // 000000004488: 0A8A0B45
	v_mul_f32_e32 v70, v70, v6                                 // 00000000448C: 0A8C0D46
	v_mul_f32_e32 v71, v71, v7                                 // 000000004490: 0A8E0F47
	v_mul_f32_e32 v68, v68, v84                                // 000000004494: 0A88A944
	v_mul_f32_e32 v69, v69, v85                                // 000000004498: 0A8AAB45
	v_mul_f32_e32 v70, v70, v86                                // 00000000449C: 0A8CAD46
	v_mul_f32_e32 v71, v71, v87                                // 0000000044A0: 0A8EAF47
	s_branch label_072A                                        // 0000000044A4: BF820080

00000000000044a8 <label_06AA>:
	v_mul_f32_e64 v4, -v56, s6                                 // 0000000044A8: D1050004 20000D38
	v_mul_f32_e64 v5, -v57, s6                                 // 0000000044B0: D1050005 20000D39
	v_mul_f32_e64 v6, -v58, s6                                 // 0000000044B8: D1050006 20000D3A
	v_mul_f32_e64 v7, -v59, s6                                 // 0000000044C0: D1050007 20000D3B
	v_exp_f32_e32 v4, v4                                       // 0000000044C8: 7E084104
	v_exp_f32_e32 v5, v5                                       // 0000000044CC: 7E0A4105
	v_exp_f32_e32 v6, v6                                       // 0000000044D0: 7E0C4106
	v_exp_f32_e32 v7, v7                                       // 0000000044D4: 7E0E4107
	v_add_f32_e64 v4, v4, 1.0                                  // 0000000044D8: D1010004 0001E504
	v_add_f32_e64 v5, v5, 1.0                                  // 0000000044E0: D1010005 0001E505
	v_add_f32_e64 v6, v6, 1.0                                  // 0000000044E8: D1010006 0001E506
	v_add_f32_e64 v7, v7, 1.0                                  // 0000000044F0: D1010007 0001E507
	v_rcp_f32_e32 v4, v4                                       // 0000000044F8: 7E084504
	v_rcp_f32_e32 v5, v5                                       // 0000000044FC: 7E0A4505
	v_rcp_f32_e32 v6, v6                                       // 000000004500: 7E0C4506
	v_rcp_f32_e32 v7, v7                                       // 000000004504: 7E0E4507
	v_mul_f32_e32 v56, v56, v4                                 // 000000004508: 0A700938
	v_mul_f32_e32 v57, v57, v5                                 // 00000000450C: 0A720B39
	v_mul_f32_e32 v58, v58, v6                                 // 000000004510: 0A740D3A
	v_mul_f32_e32 v59, v59, v7                                 // 000000004514: 0A760F3B
	v_mul_f32_e32 v56, v56, v72                                // 000000004518: 0A709138
	v_mul_f32_e32 v57, v57, v73                                // 00000000451C: 0A729339
	v_mul_f32_e32 v58, v58, v74                                // 000000004520: 0A74953A
	v_mul_f32_e32 v59, v59, v75                                // 000000004524: 0A76973B
	v_mul_f32_e64 v4, -v60, s6                                 // 000000004528: D1050004 20000D3C
	v_mul_f32_e64 v5, -v61, s6                                 // 000000004530: D1050005 20000D3D
	v_mul_f32_e64 v6, -v62, s6                                 // 000000004538: D1050006 20000D3E
	v_mul_f32_e64 v7, -v63, s6                                 // 000000004540: D1050007 20000D3F
	v_exp_f32_e32 v4, v4                                       // 000000004548: 7E084104
	v_exp_f32_e32 v5, v5                                       // 00000000454C: 7E0A4105
	v_exp_f32_e32 v6, v6                                       // 000000004550: 7E0C4106
	v_exp_f32_e32 v7, v7                                       // 000000004554: 7E0E4107
	v_add_f32_e64 v4, v4, 1.0                                  // 000000004558: D1010004 0001E504
	v_add_f32_e64 v5, v5, 1.0                                  // 000000004560: D1010005 0001E505
	v_add_f32_e64 v6, v6, 1.0                                  // 000000004568: D1010006 0001E506
	v_add_f32_e64 v7, v7, 1.0                                  // 000000004570: D1010007 0001E507
	v_rcp_f32_e32 v4, v4                                       // 000000004578: 7E084504
	v_rcp_f32_e32 v5, v5                                       // 00000000457C: 7E0A4505
	v_rcp_f32_e32 v6, v6                                       // 000000004580: 7E0C4506
	v_rcp_f32_e32 v7, v7                                       // 000000004584: 7E0E4507
	v_mul_f32_e32 v60, v60, v4                                 // 000000004588: 0A78093C
	v_mul_f32_e32 v61, v61, v5                                 // 00000000458C: 0A7A0B3D
	v_mul_f32_e32 v62, v62, v6                                 // 000000004590: 0A7C0D3E
	v_mul_f32_e32 v63, v63, v7                                 // 000000004594: 0A7E0F3F
	v_mul_f32_e32 v60, v60, v76                                // 000000004598: 0A78993C
	v_mul_f32_e32 v61, v61, v77                                // 00000000459C: 0A7A9B3D
	v_mul_f32_e32 v62, v62, v78                                // 0000000045A0: 0A7C9D3E
	v_mul_f32_e32 v63, v63, v79                                // 0000000045A4: 0A7E9F3F
	v_mul_f32_e64 v4, -v64, s6                                 // 0000000045A8: D1050004 20000D40
	v_mul_f32_e64 v5, -v65, s6                                 // 0000000045B0: D1050005 20000D41
	v_mul_f32_e64 v6, -v66, s6                                 // 0000000045B8: D1050006 20000D42
	v_mul_f32_e64 v7, -v67, s6                                 // 0000000045C0: D1050007 20000D43
	v_exp_f32_e32 v4, v4                                       // 0000000045C8: 7E084104
	v_exp_f32_e32 v5, v5                                       // 0000000045CC: 7E0A4105
	v_exp_f32_e32 v6, v6                                       // 0000000045D0: 7E0C4106
	v_exp_f32_e32 v7, v7                                       // 0000000045D4: 7E0E4107
	v_add_f32_e64 v4, v4, 1.0                                  // 0000000045D8: D1010004 0001E504
	v_add_f32_e64 v5, v5, 1.0                                  // 0000000045E0: D1010005 0001E505
	v_add_f32_e64 v6, v6, 1.0                                  // 0000000045E8: D1010006 0001E506
	v_add_f32_e64 v7, v7, 1.0                                  // 0000000045F0: D1010007 0001E507
	v_rcp_f32_e32 v4, v4                                       // 0000000045F8: 7E084504
	v_rcp_f32_e32 v5, v5                                       // 0000000045FC: 7E0A4505
	v_rcp_f32_e32 v6, v6                                       // 000000004600: 7E0C4506
	v_rcp_f32_e32 v7, v7                                       // 000000004604: 7E0E4507
	v_mul_f32_e32 v64, v64, v4                                 // 000000004608: 0A800940
	v_mul_f32_e32 v65, v65, v5                                 // 00000000460C: 0A820B41
	v_mul_f32_e32 v66, v66, v6                                 // 000000004610: 0A840D42
	v_mul_f32_e32 v67, v67, v7                                 // 000000004614: 0A860F43
	v_mul_f32_e32 v64, v64, v80                                // 000000004618: 0A80A140
	v_mul_f32_e32 v65, v65, v81                                // 00000000461C: 0A82A341
	v_mul_f32_e32 v66, v66, v82                                // 000000004620: 0A84A542
	v_mul_f32_e32 v67, v67, v83                                // 000000004624: 0A86A743
	v_mul_f32_e64 v4, -v68, s6                                 // 000000004628: D1050004 20000D44
	v_mul_f32_e64 v5, -v69, s6                                 // 000000004630: D1050005 20000D45
	v_mul_f32_e64 v6, -v70, s6                                 // 000000004638: D1050006 20000D46
	v_mul_f32_e64 v7, -v71, s6                                 // 000000004640: D1050007 20000D47
	v_exp_f32_e32 v4, v4                                       // 000000004648: 7E084104
	v_exp_f32_e32 v5, v5                                       // 00000000464C: 7E0A4105
	v_exp_f32_e32 v6, v6                                       // 000000004650: 7E0C4106
	v_exp_f32_e32 v7, v7                                       // 000000004654: 7E0E4107
	v_add_f32_e64 v4, v4, 1.0                                  // 000000004658: D1010004 0001E504
	v_add_f32_e64 v5, v5, 1.0                                  // 000000004660: D1010005 0001E505
	v_add_f32_e64 v6, v6, 1.0                                  // 000000004668: D1010006 0001E506
	v_add_f32_e64 v7, v7, 1.0                                  // 000000004670: D1010007 0001E507
	v_rcp_f32_e32 v4, v4                                       // 000000004678: 7E084504
	v_rcp_f32_e32 v5, v5                                       // 00000000467C: 7E0A4505
	v_rcp_f32_e32 v6, v6                                       // 000000004680: 7E0C4506
	v_rcp_f32_e32 v7, v7                                       // 000000004684: 7E0E4507
	v_mul_f32_e32 v68, v68, v4                                 // 000000004688: 0A880944
	v_mul_f32_e32 v69, v69, v5                                 // 00000000468C: 0A8A0B45
	v_mul_f32_e32 v70, v70, v6                                 // 000000004690: 0A8C0D46
	v_mul_f32_e32 v71, v71, v7                                 // 000000004694: 0A8E0F47
	v_mul_f32_e32 v68, v68, v84                                // 000000004698: 0A88A944
	v_mul_f32_e32 v69, v69, v85                                // 00000000469C: 0A8AAB45
	v_mul_f32_e32 v70, v70, v86                                // 0000000046A0: 0A8CAD46
	v_mul_f32_e32 v71, v71, v87                                // 0000000046A4: 0A8EAF47

00000000000046a8 <label_072A>:
	v_cmp_u_f32_e64 s[46:47], v56, v56                         // 0000000046A8: D048002E 00027138
	v_add3_u32 v16, v56, v19, 1                                // 0000000046B0: D1FF0010 02062738
	v_cndmask_b32_e64 v4, v16, v18, s[46:47]                   // 0000000046B8: D1000004 00BA2510
	v_cmp_u_f32_e64 s[46:47], v57, v57                         // 0000000046C0: D048002E 00027339
	v_add3_u32 v16, v57, v19, 1                                // 0000000046C8: D1FF0010 02062739
	v_cndmask_b32_e64 v5, v16, v18, s[46:47]                   // 0000000046D0: D1000005 00BA2510
	v_perm_b32 v56, v5, v4, s52                                // 0000000046D8: D1ED0038 00D20905
	v_cmp_u_f32_e64 s[46:47], v58, v58                         // 0000000046E0: D048002E 0002753A
	v_add3_u32 v16, v58, v19, 1                                // 0000000046E8: D1FF0010 0206273A
	v_cndmask_b32_e64 v4, v16, v18, s[46:47]                   // 0000000046F0: D1000004 00BA2510
	v_cmp_u_f32_e64 s[46:47], v59, v59                         // 0000000046F8: D048002E 0002773B
	v_add3_u32 v16, v59, v19, 1                                // 000000004700: D1FF0010 0206273B
	v_cndmask_b32_e64 v5, v16, v18, s[46:47]                   // 000000004708: D1000005 00BA2510
	v_perm_b32 v57, v5, v4, s52                                // 000000004710: D1ED0039 00D20905
	v_cmp_u_f32_e64 s[46:47], v60, v60                         // 000000004718: D048002E 0002793C
	v_add3_u32 v16, v60, v19, 1                                // 000000004720: D1FF0010 0206273C
	v_cndmask_b32_e64 v4, v16, v18, s[46:47]                   // 000000004728: D1000004 00BA2510
	v_cmp_u_f32_e64 s[46:47], v61, v61                         // 000000004730: D048002E 00027B3D
	v_add3_u32 v16, v61, v19, 1                                // 000000004738: D1FF0010 0206273D
	v_cndmask_b32_e64 v5, v16, v18, s[46:47]                   // 000000004740: D1000005 00BA2510
	v_perm_b32 v58, v5, v4, s52                                // 000000004748: D1ED003A 00D20905
	v_cmp_u_f32_e64 s[46:47], v62, v62                         // 000000004750: D048002E 00027D3E
	v_add3_u32 v16, v62, v19, 1                                // 000000004758: D1FF0010 0206273E
	v_cndmask_b32_e64 v4, v16, v18, s[46:47]                   // 000000004760: D1000004 00BA2510
	v_cmp_u_f32_e64 s[46:47], v63, v63                         // 000000004768: D048002E 00027F3F
	v_add3_u32 v16, v63, v19, 1                                // 000000004770: D1FF0010 0206273F
	v_cndmask_b32_e64 v5, v16, v18, s[46:47]                   // 000000004778: D1000005 00BA2510
	v_perm_b32 v59, v5, v4, s52                                // 000000004780: D1ED003B 00D20905
	v_cmp_u_f32_e64 s[46:47], v64, v64                         // 000000004788: D048002E 00028140
	v_add3_u32 v16, v64, v19, 1                                // 000000004790: D1FF0010 02062740
	v_cndmask_b32_e64 v4, v16, v18, s[46:47]                   // 000000004798: D1000004 00BA2510
	v_cmp_u_f32_e64 s[46:47], v65, v65                         // 0000000047A0: D048002E 00028341
	v_add3_u32 v16, v65, v19, 1                                // 0000000047A8: D1FF0010 02062741
	v_cndmask_b32_e64 v5, v16, v18, s[46:47]                   // 0000000047B0: D1000005 00BA2510
	v_perm_b32 v60, v5, v4, s52                                // 0000000047B8: D1ED003C 00D20905
	v_cmp_u_f32_e64 s[46:47], v66, v66                         // 0000000047C0: D048002E 00028542
	v_add3_u32 v16, v66, v19, 1                                // 0000000047C8: D1FF0010 02062742
	v_cndmask_b32_e64 v4, v16, v18, s[46:47]                   // 0000000047D0: D1000004 00BA2510
	v_cmp_u_f32_e64 s[46:47], v67, v67                         // 0000000047D8: D048002E 00028743
	v_add3_u32 v16, v67, v19, 1                                // 0000000047E0: D1FF0010 02062743
	v_cndmask_b32_e64 v5, v16, v18, s[46:47]                   // 0000000047E8: D1000005 00BA2510
	v_perm_b32 v61, v5, v4, s52                                // 0000000047F0: D1ED003D 00D20905
	v_cmp_u_f32_e64 s[46:47], v68, v68                         // 0000000047F8: D048002E 00028944
	v_add3_u32 v16, v68, v19, 1                                // 000000004800: D1FF0010 02062744
	v_cndmask_b32_e64 v4, v16, v18, s[46:47]                   // 000000004808: D1000004 00BA2510
	v_cmp_u_f32_e64 s[46:47], v69, v69                         // 000000004810: D048002E 00028B45
	v_add3_u32 v16, v69, v19, 1                                // 000000004818: D1FF0010 02062745
	v_cndmask_b32_e64 v5, v16, v18, s[46:47]                   // 000000004820: D1000005 00BA2510
	v_perm_b32 v62, v5, v4, s52                                // 000000004828: D1ED003E 00D20905
	v_cmp_u_f32_e64 s[46:47], v70, v70                         // 000000004830: D048002E 00028D46
	v_add3_u32 v16, v70, v19, 1                                // 000000004838: D1FF0010 02062746
	v_cndmask_b32_e64 v4, v16, v18, s[46:47]                   // 000000004840: D1000004 00BA2510
	v_cmp_u_f32_e64 s[46:47], v71, v71                         // 000000004848: D048002E 00028F47
	v_add3_u32 v16, v71, v19, 1                                // 000000004850: D1FF0010 02062747
	v_cndmask_b32_e64 v5, v16, v18, s[46:47]                   // 000000004858: D1000005 00BA2510
	v_perm_b32 v63, v5, v4, s52                                // 000000004860: D1ED003F 00D20905
	ds_write_b64 v20, v[56:57]                                 // 000000004868: D89A0000 00003814
	ds_write_b64 v20, v[58:59] offset:2176                     // 000000004870: D89A0880 00003A14
	ds_write_b64 v20, v[60:61] offset:4352                     // 000000004878: D89A1100 00003C14
	ds_write_b64 v20, v[62:63] offset:6528                     // 000000004880: D89A1980 00003E14
	v_lshrrev_b32_e32 v4, 5, v0                                // 000000004888: 20080085
	v_xor_b32_e32 v5, 1, v4                                    // 00000000488C: 2A0A0881
	s_mul_i32 s60, s65, 2                                      // 000000004890: 923C8241
	s_cmp_eq_u32 s88, 0                                        // 000000004894: BF068058
	s_cselect_b32 s61, 1, 4                                    // 000000004898: 853D8481
	s_mul_i32 s60, s61, s60                                    // 00000000489C: 923C3C3D
	v_readlane_b32 s82, v3, 0                                  // 0000000048A0: D2890052 00010103
	s_lshr_b32 s61, s82, 24                                    // 0000000048A8: 8F3D9852
	s_and_b32 s82, s82, 0xffffff                               // 0000000048AC: 8652FF52 00FFFFFF
	s_mul_i32 s82, s82, s71                                    // 0000000048B4: 92524752
	s_mul_i32 s61, s60, s61                                    // 0000000048B8: 923D3D3C
	s_add_u32 s82, s82, s61                                    // 0000000048BC: 80523D52
	v_mul_lo_u32 v6, v5, s82                                   // 0000000048C0: D2850006 0000A505
	v_readlane_b32 s82, v3, 1                                  // 0000000048C8: D2890052 00010303
	s_lshr_b32 s61, s82, 24                                    // 0000000048D0: 8F3D9852
	s_and_b32 s82, s82, 0xffffff                               // 0000000048D4: 8652FF52 00FFFFFF
	s_mul_i32 s82, s82, s71                                    // 0000000048DC: 92524752
	s_mul_i32 s61, s60, s61                                    // 0000000048E0: 923D3D3C
	s_add_u32 s82, s82, s61                                    // 0000000048E4: 80523D52
	v_mul_lo_u32 v7, v4, s82                                   // 0000000048E8: D2850007 0000A504
	v_add_u32_e32 v46, v6, v7                                  // 0000000048F0: 685C0F06
	v_readlane_b32 s82, v3, 2                                  // 0000000048F4: D2890052 00010503
	s_lshr_b32 s61, s82, 24                                    // 0000000048FC: 8F3D9852
	s_and_b32 s82, s82, 0xffffff                               // 000000004900: 8652FF52 00FFFFFF
	s_mul_i32 s82, s82, s71                                    // 000000004908: 92524752
	s_mul_i32 s61, s60, s61                                    // 00000000490C: 923D3D3C
	s_add_u32 s82, s82, s61                                    // 000000004910: 80523D52
	v_mul_lo_u32 v6, v5, s82                                   // 000000004914: D2850006 0000A505
	v_readlane_b32 s82, v3, 3                                  // 00000000491C: D2890052 00010703
	s_lshr_b32 s61, s82, 24                                    // 000000004924: 8F3D9852
	s_and_b32 s82, s82, 0xffffff                               // 000000004928: 8652FF52 00FFFFFF
	s_mul_i32 s82, s82, s71                                    // 000000004930: 92524752
	s_mul_i32 s61, s60, s61                                    // 000000004934: 923D3D3C
	s_add_u32 s82, s82, s61                                    // 000000004938: 80523D52
	v_mul_lo_u32 v7, v4, s82                                   // 00000000493C: D2850007 0000A504
	v_add_u32_e32 v47, v6, v7                                  // 000000004944: 685E0F06
	v_readlane_b32 s82, v3, 4                                  // 000000004948: D2890052 00010903
	s_lshr_b32 s61, s82, 24                                    // 000000004950: 8F3D9852
	s_and_b32 s82, s82, 0xffffff                               // 000000004954: 8652FF52 00FFFFFF
	s_mul_i32 s82, s82, s71                                    // 00000000495C: 92524752
	s_mul_i32 s61, s60, s61                                    // 000000004960: 923D3D3C
	s_add_u32 s82, s82, s61                                    // 000000004964: 80523D52
	v_mul_lo_u32 v6, v5, s82                                   // 000000004968: D2850006 0000A505
	v_readlane_b32 s82, v3, 5                                  // 000000004970: D2890052 00010B03
	s_lshr_b32 s61, s82, 24                                    // 000000004978: 8F3D9852
	s_and_b32 s82, s82, 0xffffff                               // 00000000497C: 8652FF52 00FFFFFF
	s_mul_i32 s82, s82, s71                                    // 000000004984: 92524752
	s_mul_i32 s61, s60, s61                                    // 000000004988: 923D3D3C
	s_add_u32 s82, s82, s61                                    // 00000000498C: 80523D52
	v_mul_lo_u32 v7, v4, s82                                   // 000000004990: D2850007 0000A504
	v_add_u32_e32 v48, v6, v7                                  // 000000004998: 68600F06
	v_readlane_b32 s82, v3, 6                                  // 00000000499C: D2890052 00010D03
	s_lshr_b32 s61, s82, 24                                    // 0000000049A4: 8F3D9852
	s_and_b32 s82, s82, 0xffffff                               // 0000000049A8: 8652FF52 00FFFFFF
	s_mul_i32 s82, s82, s71                                    // 0000000049B0: 92524752
	s_mul_i32 s61, s60, s61                                    // 0000000049B4: 923D3D3C
	s_add_u32 s82, s82, s61                                    // 0000000049B8: 80523D52
	v_mul_lo_u32 v6, v5, s82                                   // 0000000049BC: D2850006 0000A505
	v_readlane_b32 s82, v3, 7                                  // 0000000049C4: D2890052 00010F03
	s_lshr_b32 s61, s82, 24                                    // 0000000049CC: 8F3D9852
	s_and_b32 s82, s82, 0xffffff                               // 0000000049D0: 8652FF52 00FFFFFF
	s_mul_i32 s82, s82, s71                                    // 0000000049D8: 92524752
	s_mul_i32 s61, s60, s61                                    // 0000000049DC: 923D3D3C
	s_add_u32 s82, s82, s61                                    // 0000000049E0: 80523D52
	v_mul_lo_u32 v7, v4, s82                                   // 0000000049E4: D2850007 0000A504
	v_add_u32_e32 v49, v6, v7                                  // 0000000049EC: 68620F06
	v_readlane_b32 s82, v3, 8                                  // 0000000049F0: D2890052 00011103
	s_lshr_b32 s61, s82, 24                                    // 0000000049F8: 8F3D9852
	s_and_b32 s82, s82, 0xffffff                               // 0000000049FC: 8652FF52 00FFFFFF
	s_mul_i32 s82, s82, s71                                    // 000000004A04: 92524752
	s_mul_i32 s61, s60, s61                                    // 000000004A08: 923D3D3C
	s_add_u32 s82, s82, s61                                    // 000000004A0C: 80523D52
	v_mul_lo_u32 v6, v5, s82                                   // 000000004A10: D2850006 0000A505
	v_readlane_b32 s82, v3, 9                                  // 000000004A18: D2890052 00011303
	s_lshr_b32 s61, s82, 24                                    // 000000004A20: 8F3D9852
	s_and_b32 s82, s82, 0xffffff                               // 000000004A24: 8652FF52 00FFFFFF
	s_mul_i32 s82, s82, s71                                    // 000000004A2C: 92524752
	s_mul_i32 s61, s60, s61                                    // 000000004A30: 923D3D3C
	s_add_u32 s82, s82, s61                                    // 000000004A34: 80523D52
	v_mul_lo_u32 v7, v4, s82                                   // 000000004A38: D2850007 0000A504
	v_add_u32_e32 v50, v6, v7                                  // 000000004A40: 68640F06
	v_readlane_b32 s82, v3, 10                                 // 000000004A44: D2890052 00011503
	s_lshr_b32 s61, s82, 24                                    // 000000004A4C: 8F3D9852
	s_and_b32 s82, s82, 0xffffff                               // 000000004A50: 8652FF52 00FFFFFF
	s_mul_i32 s82, s82, s71                                    // 000000004A58: 92524752
	s_mul_i32 s61, s60, s61                                    // 000000004A5C: 923D3D3C
	s_add_u32 s82, s82, s61                                    // 000000004A60: 80523D52
	v_mul_lo_u32 v6, v5, s82                                   // 000000004A64: D2850006 0000A505
	v_readlane_b32 s82, v3, 11                                 // 000000004A6C: D2890052 00011703
	s_lshr_b32 s61, s82, 24                                    // 000000004A74: 8F3D9852
	s_and_b32 s82, s82, 0xffffff                               // 000000004A78: 8652FF52 00FFFFFF
	s_mul_i32 s82, s82, s71                                    // 000000004A80: 92524752
	s_mul_i32 s61, s60, s61                                    // 000000004A84: 923D3D3C
	s_add_u32 s82, s82, s61                                    // 000000004A88: 80523D52
	v_mul_lo_u32 v7, v4, s82                                   // 000000004A8C: D2850007 0000A504
	v_add_u32_e32 v51, v6, v7                                  // 000000004A94: 68660F06
	v_readlane_b32 s82, v3, 12                                 // 000000004A98: D2890052 00011903
	s_lshr_b32 s61, s82, 24                                    // 000000004AA0: 8F3D9852
	s_and_b32 s82, s82, 0xffffff                               // 000000004AA4: 8652FF52 00FFFFFF
	s_mul_i32 s82, s82, s71                                    // 000000004AAC: 92524752
	s_mul_i32 s61, s60, s61                                    // 000000004AB0: 923D3D3C
	s_add_u32 s82, s82, s61                                    // 000000004AB4: 80523D52
	v_mul_lo_u32 v6, v5, s82                                   // 000000004AB8: D2850006 0000A505
	v_readlane_b32 s82, v3, 13                                 // 000000004AC0: D2890052 00011B03
	s_lshr_b32 s61, s82, 24                                    // 000000004AC8: 8F3D9852
	s_and_b32 s82, s82, 0xffffff                               // 000000004ACC: 8652FF52 00FFFFFF
	s_mul_i32 s82, s82, s71                                    // 000000004AD4: 92524752
	s_mul_i32 s61, s60, s61                                    // 000000004AD8: 923D3D3C
	s_add_u32 s82, s82, s61                                    // 000000004ADC: 80523D52
	v_mul_lo_u32 v7, v4, s82                                   // 000000004AE0: D2850007 0000A504
	v_add_u32_e32 v52, v6, v7                                  // 000000004AE8: 68680F06
	v_readlane_b32 s82, v3, 14                                 // 000000004AEC: D2890052 00011D03
	s_lshr_b32 s61, s82, 24                                    // 000000004AF4: 8F3D9852
	s_and_b32 s82, s82, 0xffffff                               // 000000004AF8: 8652FF52 00FFFFFF
	s_mul_i32 s82, s82, s71                                    // 000000004B00: 92524752
	s_mul_i32 s61, s60, s61                                    // 000000004B04: 923D3D3C
	s_add_u32 s82, s82, s61                                    // 000000004B08: 80523D52
	v_mul_lo_u32 v6, v5, s82                                   // 000000004B0C: D2850006 0000A505
	v_readlane_b32 s82, v3, 15                                 // 000000004B14: D2890052 00011F03
	s_lshr_b32 s61, s82, 24                                    // 000000004B1C: 8F3D9852
	s_and_b32 s82, s82, 0xffffff                               // 000000004B20: 8652FF52 00FFFFFF
	s_mul_i32 s82, s82, s71                                    // 000000004B28: 92524752
	s_mul_i32 s61, s60, s61                                    // 000000004B2C: 923D3D3C
	s_add_u32 s82, s82, s61                                    // 000000004B30: 80523D52
	v_mul_lo_u32 v7, v4, s82                                   // 000000004B34: D2850007 0000A504
	v_add_u32_e32 v53, v6, v7                                  // 000000004B3C: 686A0F06
	v_and_b32_e32 v4, 31, v0                                   // 000000004B40: 2608009F
	v_lshrrev_b32_e32 v4, 1, v4                                // 000000004B44: 20080881
	s_cmp_eq_u32 s88, 0                                        // 000000004B48: BF068058
	s_cselect_b32 s61, 2, 4                                    // 000000004B4C: 853D8482
	v_mul_lo_u32 v4, v4, s61                                   // 000000004B50: D2850004 00007B04
	v_and_b32_e64 v5, v0, 1                                    // 000000004B58: D1130005 00010300
	v_add_u32_e32 v4, v4, v5                                   // 000000004B60: 68080B04
	v_lshlrev_b32_e32 v4, 2, v4                                // 000000004B64: 24080882
	v_add_u32_e32 v46, v46, v4                                 // 000000004B68: 685C092E
	v_add_u32_e32 v47, v47, v4                                 // 000000004B6C: 685E092F
	v_add_u32_e32 v48, v48, v4                                 // 000000004B70: 68600930
	v_add_u32_e32 v49, v49, v4                                 // 000000004B74: 68620931
	v_add_u32_e32 v50, v50, v4                                 // 000000004B78: 68640932
	v_add_u32_e32 v51, v51, v4                                 // 000000004B7C: 68660933
	v_add_u32_e32 v52, v52, v4                                 // 000000004B80: 68680934
	v_add_u32_e32 v53, v53, v4                                 // 000000004B84: 686A0935
	s_waitcnt lgkmcnt(0)                                       // 000000004B88: BF8CC07F
	s_barrier                                                  // 000000004B8C: BF8A0000
	ds_read_b32 v56, v21                                       // 000000004B90: D86C0000 38000015
	ds_read_b32 v57, v21 offset:64                             // 000000004B98: D86C0040 39000015
	ds_read_b32 v58, v21 offset:2176                           // 000000004BA0: D86C0880 3A000015
	ds_read_b32 v59, v21 offset:2240                           // 000000004BA8: D86C08C0 3B000015
	ds_read_b32 v60, v21 offset:4352                           // 000000004BB0: D86C1100 3C000015
	ds_read_b32 v61, v21 offset:4416                           // 000000004BB8: D86C1140 3D000015
	ds_read_b32 v62, v21 offset:6528                           // 000000004BC0: D86C1980 3E000015
	ds_read_b32 v63, v21 offset:6592                           // 000000004BC8: D86C19C0 3F000015
	s_waitcnt lgkmcnt(0)                                       // 000000004BD0: BF8CC07F
	s_mov_b32 s36, -1                                          // 000000004BD4: BEA400C1
	s_mov_b32 s37, -1                                          // 000000004BD8: BEA500C1
	v_mov_b32_e32 v7, 0                                        // 000000004BDC: 7E0E0280
	s_or_b32 s9, s9, 0x40000                                   // 000000004BE0: 8709FF09 00040000
	s_mov_b64 exec, s[36:37]                                   // 000000004BE8: BEFE0124
	v_mov_b32_e32 v6, v46                                      // 000000004BEC: 7E0C032E
	s_mov_b64 s[60:61], 0                                      // 000000004BF0: BEBC0180
	v_readlane_b32 s82, v3, 0                                  // 000000004BF4: D2890052 00010103
	s_and_b32 s82, s82, 0xffffff                               // 000000004BFC: 8652FF52 00FFFFFF
	s_cmp_lt_u32 s82, s66                                      // 000000004C04: BF0A4252
	s_cselect_b32 s20, s36, s60                                // 000000004C08: 85143C24
	v_readlane_b32 s82, v3, 1                                  // 000000004C0C: D2890052 00010303
	s_and_b32 s82, s82, 0xffffff                               // 000000004C14: 8652FF52 00FFFFFF
	s_cmp_lt_u32 s82, s66                                      // 000000004C1C: BF0A4252
	s_cselect_b32 s21, s36, s60                                // 000000004C20: 85153C24
	s_mov_b64 exec, s[20:21]                                   // 000000004C24: BEFE0114
	buffer_store_dword v56, v6, s[8:11], 0 offen               // 000000004C28: E0701000 80023806
	s_mov_b64 exec, s[36:37]                                   // 000000004C30: BEFE0124
	v_mov_b32_e32 v6, v47                                      // 000000004C34: 7E0C032F
	s_mov_b64 s[60:61], 0                                      // 000000004C38: BEBC0180
	v_readlane_b32 s82, v3, 2                                  // 000000004C3C: D2890052 00010503
	s_and_b32 s82, s82, 0xffffff                               // 000000004C44: 8652FF52 00FFFFFF
	s_cmp_lt_u32 s82, s66                                      // 000000004C4C: BF0A4252
	s_cselect_b32 s20, s36, s60                                // 000000004C50: 85143C24
	v_readlane_b32 s82, v3, 3                                  // 000000004C54: D2890052 00010703
	s_and_b32 s82, s82, 0xffffff                               // 000000004C5C: 8652FF52 00FFFFFF
	s_cmp_lt_u32 s82, s66                                      // 000000004C64: BF0A4252
	s_cselect_b32 s21, s36, s60                                // 000000004C68: 85153C24
	s_mov_b64 exec, s[20:21]                                   // 000000004C6C: BEFE0114
	buffer_store_dword v57, v6, s[8:11], 0 offen               // 000000004C70: E0701000 80023906
	s_mov_b64 exec, s[36:37]                                   // 000000004C78: BEFE0124
	v_mov_b32_e32 v6, v48                                      // 000000004C7C: 7E0C0330
	s_mov_b64 s[60:61], 0                                      // 000000004C80: BEBC0180
	v_readlane_b32 s82, v3, 4                                  // 000000004C84: D2890052 00010903
	s_and_b32 s82, s82, 0xffffff                               // 000000004C8C: 8652FF52 00FFFFFF
	s_cmp_lt_u32 s82, s66                                      // 000000004C94: BF0A4252
	s_cselect_b32 s20, s36, s60                                // 000000004C98: 85143C24
	v_readlane_b32 s82, v3, 5                                  // 000000004C9C: D2890052 00010B03
	s_and_b32 s82, s82, 0xffffff                               // 000000004CA4: 8652FF52 00FFFFFF
	s_cmp_lt_u32 s82, s66                                      // 000000004CAC: BF0A4252
	s_cselect_b32 s21, s36, s60                                // 000000004CB0: 85153C24
	s_mov_b64 exec, s[20:21]                                   // 000000004CB4: BEFE0114
	buffer_store_dword v58, v6, s[8:11], 0 offen               // 000000004CB8: E0701000 80023A06
	s_mov_b64 exec, s[36:37]                                   // 000000004CC0: BEFE0124
	v_mov_b32_e32 v6, v49                                      // 000000004CC4: 7E0C0331
	s_mov_b64 s[60:61], 0                                      // 000000004CC8: BEBC0180
	v_readlane_b32 s82, v3, 6                                  // 000000004CCC: D2890052 00010D03
	s_and_b32 s82, s82, 0xffffff                               // 000000004CD4: 8652FF52 00FFFFFF
	s_cmp_lt_u32 s82, s66                                      // 000000004CDC: BF0A4252
	s_cselect_b32 s20, s36, s60                                // 000000004CE0: 85143C24
	v_readlane_b32 s82, v3, 7                                  // 000000004CE4: D2890052 00010F03
	s_and_b32 s82, s82, 0xffffff                               // 000000004CEC: 8652FF52 00FFFFFF
	s_cmp_lt_u32 s82, s66                                      // 000000004CF4: BF0A4252
	s_cselect_b32 s21, s36, s60                                // 000000004CF8: 85153C24
	s_mov_b64 exec, s[20:21]                                   // 000000004CFC: BEFE0114
	buffer_store_dword v59, v6, s[8:11], 0 offen               // 000000004D00: E0701000 80023B06
	s_mov_b64 exec, s[36:37]                                   // 000000004D08: BEFE0124
	v_mov_b32_e32 v6, v50                                      // 000000004D0C: 7E0C0332
	s_mov_b64 s[60:61], 0                                      // 000000004D10: BEBC0180
	v_readlane_b32 s82, v3, 8                                  // 000000004D14: D2890052 00011103
	s_and_b32 s82, s82, 0xffffff                               // 000000004D1C: 8652FF52 00FFFFFF
	s_cmp_lt_u32 s82, s66                                      // 000000004D24: BF0A4252
	s_cselect_b32 s20, s36, s60                                // 000000004D28: 85143C24
	v_readlane_b32 s82, v3, 9                                  // 000000004D2C: D2890052 00011303
	s_and_b32 s82, s82, 0xffffff                               // 000000004D34: 8652FF52 00FFFFFF
	s_cmp_lt_u32 s82, s66                                      // 000000004D3C: BF0A4252
	s_cselect_b32 s21, s36, s60                                // 000000004D40: 85153C24
	s_mov_b64 exec, s[20:21]                                   // 000000004D44: BEFE0114
	buffer_store_dword v60, v6, s[8:11], 0 offen               // 000000004D48: E0701000 80023C06
	s_mov_b64 exec, s[36:37]                                   // 000000004D50: BEFE0124
	v_mov_b32_e32 v6, v51                                      // 000000004D54: 7E0C0333
	s_mov_b64 s[60:61], 0                                      // 000000004D58: BEBC0180
	v_readlane_b32 s82, v3, 10                                 // 000000004D5C: D2890052 00011503
	s_and_b32 s82, s82, 0xffffff                               // 000000004D64: 8652FF52 00FFFFFF
	s_cmp_lt_u32 s82, s66                                      // 000000004D6C: BF0A4252
	s_cselect_b32 s20, s36, s60                                // 000000004D70: 85143C24
	v_readlane_b32 s82, v3, 11                                 // 000000004D74: D2890052 00011703
	s_and_b32 s82, s82, 0xffffff                               // 000000004D7C: 8652FF52 00FFFFFF
	s_cmp_lt_u32 s82, s66                                      // 000000004D84: BF0A4252
	s_cselect_b32 s21, s36, s60                                // 000000004D88: 85153C24
	s_mov_b64 exec, s[20:21]                                   // 000000004D8C: BEFE0114
	buffer_store_dword v61, v6, s[8:11], 0 offen               // 000000004D90: E0701000 80023D06
	s_mov_b64 exec, s[36:37]                                   // 000000004D98: BEFE0124
	v_mov_b32_e32 v6, v52                                      // 000000004D9C: 7E0C0334
	s_mov_b64 s[60:61], 0                                      // 000000004DA0: BEBC0180
	v_readlane_b32 s82, v3, 12                                 // 000000004DA4: D2890052 00011903
	s_and_b32 s82, s82, 0xffffff                               // 000000004DAC: 8652FF52 00FFFFFF
	s_cmp_lt_u32 s82, s66                                      // 000000004DB4: BF0A4252
	s_cselect_b32 s20, s36, s60                                // 000000004DB8: 85143C24
	v_readlane_b32 s82, v3, 13                                 // 000000004DBC: D2890052 00011B03
	s_and_b32 s82, s82, 0xffffff                               // 000000004DC4: 8652FF52 00FFFFFF
	s_cmp_lt_u32 s82, s66                                      // 000000004DCC: BF0A4252
	s_cselect_b32 s21, s36, s60                                // 000000004DD0: 85153C24
	s_mov_b64 exec, s[20:21]                                   // 000000004DD4: BEFE0114
	buffer_store_dword v62, v6, s[8:11], 0 offen               // 000000004DD8: E0701000 80023E06
	s_mov_b64 exec, s[36:37]                                   // 000000004DE0: BEFE0124
	v_mov_b32_e32 v6, v53                                      // 000000004DE4: 7E0C0335
	s_mov_b64 s[60:61], 0                                      // 000000004DE8: BEBC0180
	v_readlane_b32 s82, v3, 14                                 // 000000004DEC: D2890052 00011D03
	s_and_b32 s82, s82, 0xffffff                               // 000000004DF4: 8652FF52 00FFFFFF
	s_cmp_lt_u32 s82, s66                                      // 000000004DFC: BF0A4252
	s_cselect_b32 s20, s36, s60                                // 000000004E00: 85143C24
	v_readlane_b32 s82, v3, 15                                 // 000000004E04: D2890052 00011F03
	s_and_b32 s82, s82, 0xffffff                               // 000000004E0C: 8652FF52 00FFFFFF
	s_cmp_lt_u32 s82, s66                                      // 000000004E14: BF0A4252
	s_cselect_b32 s21, s36, s60                                // 000000004E18: 85153C24
	s_mov_b64 exec, s[20:21]                                   // 000000004E1C: BEFE0114
	buffer_store_dword v63, v6, s[8:11], 0 offen               // 000000004E20: E0701000 80023F06
	s_mov_b64 exec, s[36:37]                                   // 000000004E28: BEFE0124
	s_branch label_16D1                                        // 000000004E2C: BF820DC2

0000000000004e30 <label_090C>:
	ds_write_b64 v20, v[56:57]                                 // 000000004E30: D89A0000 00003814
	ds_write_b64 v20, v[60:61] offset:2176                     // 000000004E38: D89A0880 00003C14
	ds_write_b64 v20, v[64:65] offset:4352                     // 000000004E40: D89A1100 00004014
	ds_write_b64 v20, v[68:69] offset:6528                     // 000000004E48: D89A1980 00004414
	v_lshrrev_b32_e32 v4, 5, v0                                // 000000004E50: 20080085
	v_xor_b32_e32 v5, 1, v4                                    // 000000004E54: 2A0A0881
	s_mul_i32 s60, s65, 2                                      // 000000004E58: 923C8241
	s_cmp_eq_u32 s88, 0                                        // 000000004E5C: BF068058
	s_cselect_b32 s61, 1, 4                                    // 000000004E60: 853D8481
	s_mul_i32 s60, s61, s60                                    // 000000004E64: 923C3C3D
	v_readlane_b32 s82, v3, 0                                  // 000000004E68: D2890052 00010103
	s_lshr_b32 s61, s82, 24                                    // 000000004E70: 8F3D9852
	s_and_b32 s82, s82, 0xffffff                               // 000000004E74: 8652FF52 00FFFFFF
	s_mul_i32 s82, s82, s71                                    // 000000004E7C: 92524752
	s_mul_i32 s61, s60, s61                                    // 000000004E80: 923D3D3C
	s_add_u32 s82, s82, s61                                    // 000000004E84: 80523D52
	v_mul_lo_u32 v6, v5, s82                                   // 000000004E88: D2850006 0000A505
	v_readlane_b32 s82, v3, 1                                  // 000000004E90: D2890052 00010303
	s_lshr_b32 s61, s82, 24                                    // 000000004E98: 8F3D9852
	s_and_b32 s82, s82, 0xffffff                               // 000000004E9C: 8652FF52 00FFFFFF
	s_mul_i32 s82, s82, s71                                    // 000000004EA4: 92524752
	s_mul_i32 s61, s60, s61                                    // 000000004EA8: 923D3D3C
	s_add_u32 s82, s82, s61                                    // 000000004EAC: 80523D52
	v_mul_lo_u32 v7, v4, s82                                   // 000000004EB0: D2850007 0000A504
	v_add_u32_e32 v46, v6, v7                                  // 000000004EB8: 685C0F06
	v_readlane_b32 s82, v3, 2                                  // 000000004EBC: D2890052 00010503
	s_lshr_b32 s61, s82, 24                                    // 000000004EC4: 8F3D9852
	s_and_b32 s82, s82, 0xffffff                               // 000000004EC8: 8652FF52 00FFFFFF
	s_mul_i32 s82, s82, s71                                    // 000000004ED0: 92524752
	s_mul_i32 s61, s60, s61                                    // 000000004ED4: 923D3D3C
	s_add_u32 s82, s82, s61                                    // 000000004ED8: 80523D52
	v_mul_lo_u32 v6, v5, s82                                   // 000000004EDC: D2850006 0000A505
	v_readlane_b32 s82, v3, 3                                  // 000000004EE4: D2890052 00010703
	s_lshr_b32 s61, s82, 24                                    // 000000004EEC: 8F3D9852
	s_and_b32 s82, s82, 0xffffff                               // 000000004EF0: 8652FF52 00FFFFFF
	s_mul_i32 s82, s82, s71                                    // 000000004EF8: 92524752
	s_mul_i32 s61, s60, s61                                    // 000000004EFC: 923D3D3C
	s_add_u32 s82, s82, s61                                    // 000000004F00: 80523D52
	v_mul_lo_u32 v7, v4, s82                                   // 000000004F04: D2850007 0000A504
	v_add_u32_e32 v47, v6, v7                                  // 000000004F0C: 685E0F06
	v_readlane_b32 s82, v3, 4                                  // 000000004F10: D2890052 00010903
	s_lshr_b32 s61, s82, 24                                    // 000000004F18: 8F3D9852
	s_and_b32 s82, s82, 0xffffff                               // 000000004F1C: 8652FF52 00FFFFFF
	s_mul_i32 s82, s82, s71                                    // 000000004F24: 92524752
	s_mul_i32 s61, s60, s61                                    // 000000004F28: 923D3D3C
	s_add_u32 s82, s82, s61                                    // 000000004F2C: 80523D52
	v_mul_lo_u32 v6, v5, s82                                   // 000000004F30: D2850006 0000A505
	v_readlane_b32 s82, v3, 5                                  // 000000004F38: D2890052 00010B03
	s_lshr_b32 s61, s82, 24                                    // 000000004F40: 8F3D9852
	s_and_b32 s82, s82, 0xffffff                               // 000000004F44: 8652FF52 00FFFFFF
	s_mul_i32 s82, s82, s71                                    // 000000004F4C: 92524752
	s_mul_i32 s61, s60, s61                                    // 000000004F50: 923D3D3C
	s_add_u32 s82, s82, s61                                    // 000000004F54: 80523D52
	v_mul_lo_u32 v7, v4, s82                                   // 000000004F58: D2850007 0000A504
	v_add_u32_e32 v48, v6, v7                                  // 000000004F60: 68600F06
	v_readlane_b32 s82, v3, 6                                  // 000000004F64: D2890052 00010D03
	s_lshr_b32 s61, s82, 24                                    // 000000004F6C: 8F3D9852
	s_and_b32 s82, s82, 0xffffff                               // 000000004F70: 8652FF52 00FFFFFF
	s_mul_i32 s82, s82, s71                                    // 000000004F78: 92524752
	s_mul_i32 s61, s60, s61                                    // 000000004F7C: 923D3D3C
	s_add_u32 s82, s82, s61                                    // 000000004F80: 80523D52
	v_mul_lo_u32 v6, v5, s82                                   // 000000004F84: D2850006 0000A505
	v_readlane_b32 s82, v3, 7                                  // 000000004F8C: D2890052 00010F03
	s_lshr_b32 s61, s82, 24                                    // 000000004F94: 8F3D9852
	s_and_b32 s82, s82, 0xffffff                               // 000000004F98: 8652FF52 00FFFFFF
	s_mul_i32 s82, s82, s71                                    // 000000004FA0: 92524752
	s_mul_i32 s61, s60, s61                                    // 000000004FA4: 923D3D3C
	s_add_u32 s82, s82, s61                                    // 000000004FA8: 80523D52
	v_mul_lo_u32 v7, v4, s82                                   // 000000004FAC: D2850007 0000A504
	v_add_u32_e32 v49, v6, v7                                  // 000000004FB4: 68620F06
	v_readlane_b32 s82, v3, 8                                  // 000000004FB8: D2890052 00011103
	s_lshr_b32 s61, s82, 24                                    // 000000004FC0: 8F3D9852
	s_and_b32 s82, s82, 0xffffff                               // 000000004FC4: 8652FF52 00FFFFFF
	s_mul_i32 s82, s82, s71                                    // 000000004FCC: 92524752
	s_mul_i32 s61, s60, s61                                    // 000000004FD0: 923D3D3C
	s_add_u32 s82, s82, s61                                    // 000000004FD4: 80523D52
	v_mul_lo_u32 v6, v5, s82                                   // 000000004FD8: D2850006 0000A505
	v_readlane_b32 s82, v3, 9                                  // 000000004FE0: D2890052 00011303
	s_lshr_b32 s61, s82, 24                                    // 000000004FE8: 8F3D9852
	s_and_b32 s82, s82, 0xffffff                               // 000000004FEC: 8652FF52 00FFFFFF
	s_mul_i32 s82, s82, s71                                    // 000000004FF4: 92524752
	s_mul_i32 s61, s60, s61                                    // 000000004FF8: 923D3D3C
	s_add_u32 s82, s82, s61                                    // 000000004FFC: 80523D52
	v_mul_lo_u32 v7, v4, s82                                   // 000000005000: D2850007 0000A504
	v_add_u32_e32 v50, v6, v7                                  // 000000005008: 68640F06
	v_readlane_b32 s82, v3, 10                                 // 00000000500C: D2890052 00011503
	s_lshr_b32 s61, s82, 24                                    // 000000005014: 8F3D9852
	s_and_b32 s82, s82, 0xffffff                               // 000000005018: 8652FF52 00FFFFFF
	s_mul_i32 s82, s82, s71                                    // 000000005020: 92524752
	s_mul_i32 s61, s60, s61                                    // 000000005024: 923D3D3C
	s_add_u32 s82, s82, s61                                    // 000000005028: 80523D52
	v_mul_lo_u32 v6, v5, s82                                   // 00000000502C: D2850006 0000A505
	v_readlane_b32 s82, v3, 11                                 // 000000005034: D2890052 00011703
	s_lshr_b32 s61, s82, 24                                    // 00000000503C: 8F3D9852
	s_and_b32 s82, s82, 0xffffff                               // 000000005040: 8652FF52 00FFFFFF
	s_mul_i32 s82, s82, s71                                    // 000000005048: 92524752
	s_mul_i32 s61, s60, s61                                    // 00000000504C: 923D3D3C
	s_add_u32 s82, s82, s61                                    // 000000005050: 80523D52
	v_mul_lo_u32 v7, v4, s82                                   // 000000005054: D2850007 0000A504
	v_add_u32_e32 v51, v6, v7                                  // 00000000505C: 68660F06
	v_readlane_b32 s82, v3, 12                                 // 000000005060: D2890052 00011903
	s_lshr_b32 s61, s82, 24                                    // 000000005068: 8F3D9852
	s_and_b32 s82, s82, 0xffffff                               // 00000000506C: 8652FF52 00FFFFFF
	s_mul_i32 s82, s82, s71                                    // 000000005074: 92524752
	s_mul_i32 s61, s60, s61                                    // 000000005078: 923D3D3C
	s_add_u32 s82, s82, s61                                    // 00000000507C: 80523D52
	v_mul_lo_u32 v6, v5, s82                                   // 000000005080: D2850006 0000A505
	v_readlane_b32 s82, v3, 13                                 // 000000005088: D2890052 00011B03
	s_lshr_b32 s61, s82, 24                                    // 000000005090: 8F3D9852
	s_and_b32 s82, s82, 0xffffff                               // 000000005094: 8652FF52 00FFFFFF
	s_mul_i32 s82, s82, s71                                    // 00000000509C: 92524752
	s_mul_i32 s61, s60, s61                                    // 0000000050A0: 923D3D3C
	s_add_u32 s82, s82, s61                                    // 0000000050A4: 80523D52
	v_mul_lo_u32 v7, v4, s82                                   // 0000000050A8: D2850007 0000A504
	v_add_u32_e32 v52, v6, v7                                  // 0000000050B0: 68680F06
	v_readlane_b32 s82, v3, 14                                 // 0000000050B4: D2890052 00011D03
	s_lshr_b32 s61, s82, 24                                    // 0000000050BC: 8F3D9852
	s_and_b32 s82, s82, 0xffffff                               // 0000000050C0: 8652FF52 00FFFFFF
	s_mul_i32 s82, s82, s71                                    // 0000000050C8: 92524752
	s_mul_i32 s61, s60, s61                                    // 0000000050CC: 923D3D3C
	s_add_u32 s82, s82, s61                                    // 0000000050D0: 80523D52
	v_mul_lo_u32 v6, v5, s82                                   // 0000000050D4: D2850006 0000A505
	v_readlane_b32 s82, v3, 15                                 // 0000000050DC: D2890052 00011F03
	s_lshr_b32 s61, s82, 24                                    // 0000000050E4: 8F3D9852
	s_and_b32 s82, s82, 0xffffff                               // 0000000050E8: 8652FF52 00FFFFFF
	s_mul_i32 s82, s82, s71                                    // 0000000050F0: 92524752
	s_mul_i32 s61, s60, s61                                    // 0000000050F4: 923D3D3C
	s_add_u32 s82, s82, s61                                    // 0000000050F8: 80523D52
	v_mul_lo_u32 v7, v4, s82                                   // 0000000050FC: D2850007 0000A504
	v_add_u32_e32 v53, v6, v7                                  // 000000005104: 686A0F06
	v_and_b32_e32 v4, 31, v0                                   // 000000005108: 2608009F
	v_lshrrev_b32_e32 v4, 1, v4                                // 00000000510C: 20080881
	s_cmp_eq_u32 s88, 0                                        // 000000005110: BF068058
	s_cselect_b32 s61, 2, 4                                    // 000000005114: 853D8482
	v_mul_lo_u32 v4, v4, s61                                   // 000000005118: D2850004 00007B04
	v_and_b32_e64 v5, v0, 1                                    // 000000005120: D1130005 00010300
	v_add_u32_e32 v4, v4, v5                                   // 000000005128: 68080B04
	v_lshlrev_b32_e32 v4, 2, v4                                // 00000000512C: 24080882
	v_add_u32_e32 v46, v46, v4                                 // 000000005130: 685C092E
	v_add_u32_e32 v47, v47, v4                                 // 000000005134: 685E092F
	v_add_u32_e32 v48, v48, v4                                 // 000000005138: 68600930
	v_add_u32_e32 v49, v49, v4                                 // 00000000513C: 68620931
	v_add_u32_e32 v50, v50, v4                                 // 000000005140: 68640932
	v_add_u32_e32 v51, v51, v4                                 // 000000005144: 68660933
	;; [unrolled: 1-line block ×3, first 2 shown]
	v_add_u32_e32 v53, v53, v4                                 // 00000000514C: 686A0935
	s_waitcnt lgkmcnt(0)                                       // 000000005150: BF8CC07F
	s_barrier                                                  // 000000005154: BF8A0000
	ds_read_b32 v56, v21                                       // 000000005158: D86C0000 38000015
	ds_read_b32 v57, v21 offset:64                             // 000000005160: D86C0040 39000015
	ds_read_b32 v60, v21 offset:2176                           // 000000005168: D86C0880 3C000015
	ds_read_b32 v61, v21 offset:2240                           // 000000005170: D86C08C0 3D000015
	ds_read_b32 v64, v21 offset:4352                           // 000000005178: D86C1100 40000015
	ds_read_b32 v65, v21 offset:4416                           // 000000005180: D86C1140 41000015
	ds_read_b32 v68, v21 offset:6528                           // 000000005188: D86C1980 44000015
	ds_read_b32 v69, v21 offset:6592                           // 000000005190: D86C19C0 45000015
	s_waitcnt lgkmcnt(0)                                       // 000000005198: BF8CC07F
	s_mov_b32 s36, -1                                          // 00000000519C: BEA400C1
	s_mov_b32 s37, -1                                          // 0000000051A0: BEA500C1
	v_mov_b32_e32 v7, 0                                        // 0000000051A4: 7E0E0280
	s_mov_b64 exec, s[36:37]                                   // 0000000051A8: BEFE0124
	v_mov_b32_e32 v6, v46                                      // 0000000051AC: 7E0C032E
	s_mov_b64 s[60:61], 0                                      // 0000000051B0: BEBC0180
	v_readlane_b32 s82, v3, 0                                  // 0000000051B4: D2890052 00010103
	s_and_b32 s82, s82, 0xffffff                               // 0000000051BC: 8652FF52 00FFFFFF
	s_cmp_lt_u32 s82, s66                                      // 0000000051C4: BF0A4252
	s_cselect_b32 s20, s36, s60                                // 0000000051C8: 85143C24
	v_readlane_b32 s82, v3, 1                                  // 0000000051CC: D2890052 00010303
	s_and_b32 s82, s82, 0xffffff                               // 0000000051D4: 8652FF52 00FFFFFF
	s_cmp_lt_u32 s82, s66                                      // 0000000051DC: BF0A4252
	s_cselect_b32 s21, s36, s60                                // 0000000051E0: 85153C24
	s_mov_b64 exec, s[20:21]                                   // 0000000051E4: BEFE0114
	global_atomic_add_f32 v6, v56, s[8:9]                      // 0000000051E8: DD348000 00083806
	s_mov_b64 exec, s[36:37]                                   // 0000000051F0: BEFE0124
	v_mov_b32_e32 v6, v47                                      // 0000000051F4: 7E0C032F
	s_mov_b64 s[60:61], 0                                      // 0000000051F8: BEBC0180
	v_readlane_b32 s82, v3, 2                                  // 0000000051FC: D2890052 00010503
	s_and_b32 s82, s82, 0xffffff                               // 000000005204: 8652FF52 00FFFFFF
	s_cmp_lt_u32 s82, s66                                      // 00000000520C: BF0A4252
	s_cselect_b32 s20, s36, s60                                // 000000005210: 85143C24
	v_readlane_b32 s82, v3, 3                                  // 000000005214: D2890052 00010703
	s_and_b32 s82, s82, 0xffffff                               // 00000000521C: 8652FF52 00FFFFFF
	s_cmp_lt_u32 s82, s66                                      // 000000005224: BF0A4252
	s_cselect_b32 s21, s36, s60                                // 000000005228: 85153C24
	s_mov_b64 exec, s[20:21]                                   // 00000000522C: BEFE0114
	global_atomic_add_f32 v6, v57, s[8:9]                      // 000000005230: DD348000 00083906
	s_mov_b64 exec, s[36:37]                                   // 000000005238: BEFE0124
	v_mov_b32_e32 v6, v48                                      // 00000000523C: 7E0C0330
	s_mov_b64 s[60:61], 0                                      // 000000005240: BEBC0180
	v_readlane_b32 s82, v3, 4                                  // 000000005244: D2890052 00010903
	s_and_b32 s82, s82, 0xffffff                               // 00000000524C: 8652FF52 00FFFFFF
	s_cmp_lt_u32 s82, s66                                      // 000000005254: BF0A4252
	s_cselect_b32 s20, s36, s60                                // 000000005258: 85143C24
	v_readlane_b32 s82, v3, 5                                  // 00000000525C: D2890052 00010B03
	s_and_b32 s82, s82, 0xffffff                               // 000000005264: 8652FF52 00FFFFFF
	s_cmp_lt_u32 s82, s66                                      // 00000000526C: BF0A4252
	s_cselect_b32 s21, s36, s60                                // 000000005270: 85153C24
	s_mov_b64 exec, s[20:21]                                   // 000000005274: BEFE0114
	global_atomic_add_f32 v6, v60, s[8:9]                      // 000000005278: DD348000 00083C06
	s_mov_b64 exec, s[36:37]                                   // 000000005280: BEFE0124
	v_mov_b32_e32 v6, v49                                      // 000000005284: 7E0C0331
	s_mov_b64 s[60:61], 0                                      // 000000005288: BEBC0180
	v_readlane_b32 s82, v3, 6                                  // 00000000528C: D2890052 00010D03
	s_and_b32 s82, s82, 0xffffff                               // 000000005294: 8652FF52 00FFFFFF
	s_cmp_lt_u32 s82, s66                                      // 00000000529C: BF0A4252
	s_cselect_b32 s20, s36, s60                                // 0000000052A0: 85143C24
	v_readlane_b32 s82, v3, 7                                  // 0000000052A4: D2890052 00010F03
	s_and_b32 s82, s82, 0xffffff                               // 0000000052AC: 8652FF52 00FFFFFF
	s_cmp_lt_u32 s82, s66                                      // 0000000052B4: BF0A4252
	s_cselect_b32 s21, s36, s60                                // 0000000052B8: 85153C24
	s_mov_b64 exec, s[20:21]                                   // 0000000052BC: BEFE0114
	global_atomic_add_f32 v6, v61, s[8:9]                      // 0000000052C0: DD348000 00083D06
	s_mov_b64 exec, s[36:37]                                   // 0000000052C8: BEFE0124
	v_mov_b32_e32 v6, v50                                      // 0000000052CC: 7E0C0332
	s_mov_b64 s[60:61], 0                                      // 0000000052D0: BEBC0180
	v_readlane_b32 s82, v3, 8                                  // 0000000052D4: D2890052 00011103
	s_and_b32 s82, s82, 0xffffff                               // 0000000052DC: 8652FF52 00FFFFFF
	s_cmp_lt_u32 s82, s66                                      // 0000000052E4: BF0A4252
	s_cselect_b32 s20, s36, s60                                // 0000000052E8: 85143C24
	v_readlane_b32 s82, v3, 9                                  // 0000000052EC: D2890052 00011303
	s_and_b32 s82, s82, 0xffffff                               // 0000000052F4: 8652FF52 00FFFFFF
	s_cmp_lt_u32 s82, s66                                      // 0000000052FC: BF0A4252
	s_cselect_b32 s21, s36, s60                                // 000000005300: 85153C24
	s_mov_b64 exec, s[20:21]                                   // 000000005304: BEFE0114
	global_atomic_add_f32 v6, v64, s[8:9]                      // 000000005308: DD348000 00084006
	s_mov_b64 exec, s[36:37]                                   // 000000005310: BEFE0124
	v_mov_b32_e32 v6, v51                                      // 000000005314: 7E0C0333
	s_mov_b64 s[60:61], 0                                      // 000000005318: BEBC0180
	v_readlane_b32 s82, v3, 10                                 // 00000000531C: D2890052 00011503
	s_and_b32 s82, s82, 0xffffff                               // 000000005324: 8652FF52 00FFFFFF
	s_cmp_lt_u32 s82, s66                                      // 00000000532C: BF0A4252
	s_cselect_b32 s20, s36, s60                                // 000000005330: 85143C24
	v_readlane_b32 s82, v3, 11                                 // 000000005334: D2890052 00011703
	s_and_b32 s82, s82, 0xffffff                               // 00000000533C: 8652FF52 00FFFFFF
	s_cmp_lt_u32 s82, s66                                      // 000000005344: BF0A4252
	s_cselect_b32 s21, s36, s60                                // 000000005348: 85153C24
	s_mov_b64 exec, s[20:21]                                   // 00000000534C: BEFE0114
	global_atomic_add_f32 v6, v65, s[8:9]                      // 000000005350: DD348000 00084106
	s_mov_b64 exec, s[36:37]                                   // 000000005358: BEFE0124
	v_mov_b32_e32 v6, v52                                      // 00000000535C: 7E0C0334
	s_mov_b64 s[60:61], 0                                      // 000000005360: BEBC0180
	v_readlane_b32 s82, v3, 12                                 // 000000005364: D2890052 00011903
	s_and_b32 s82, s82, 0xffffff                               // 00000000536C: 8652FF52 00FFFFFF
	s_cmp_lt_u32 s82, s66                                      // 000000005374: BF0A4252
	s_cselect_b32 s20, s36, s60                                // 000000005378: 85143C24
	v_readlane_b32 s82, v3, 13                                 // 00000000537C: D2890052 00011B03
	s_and_b32 s82, s82, 0xffffff                               // 000000005384: 8652FF52 00FFFFFF
	s_cmp_lt_u32 s82, s66                                      // 00000000538C: BF0A4252
	s_cselect_b32 s21, s36, s60                                // 000000005390: 85153C24
	s_mov_b64 exec, s[20:21]                                   // 000000005394: BEFE0114
	global_atomic_add_f32 v6, v68, s[8:9]                      // 000000005398: DD348000 00084406
	s_mov_b64 exec, s[36:37]                                   // 0000000053A0: BEFE0124
	v_mov_b32_e32 v6, v53                                      // 0000000053A4: 7E0C0335
	s_mov_b64 s[60:61], 0                                      // 0000000053A8: BEBC0180
	v_readlane_b32 s82, v3, 14                                 // 0000000053AC: D2890052 00011D03
	s_and_b32 s82, s82, 0xffffff                               // 0000000053B4: 8652FF52 00FFFFFF
	s_cmp_lt_u32 s82, s66                                      // 0000000053BC: BF0A4252
	s_cselect_b32 s20, s36, s60                                // 0000000053C0: 85143C24
	v_readlane_b32 s82, v3, 15                                 // 0000000053C4: D2890052 00011F03
	s_and_b32 s82, s82, 0xffffff                               // 0000000053CC: 8652FF52 00FFFFFF
	s_cmp_lt_u32 s82, s66                                      // 0000000053D4: BF0A4252
	s_cselect_b32 s21, s36, s60                                // 0000000053D8: 85153C24
	s_mov_b64 exec, s[20:21]                                   // 0000000053DC: BEFE0114
	global_atomic_add_f32 v6, v69, s[8:9]                      // 0000000053E0: DD348000 00084506
	s_mov_b64 exec, s[36:37]                                   // 0000000053E8: BEFE0124
	ds_write_b64 v20, v[58:59]                                 // 0000000053EC: D89A0000 00003A14
	ds_write_b64 v20, v[62:63] offset:2176                     // 0000000053F4: D89A0880 00003E14
	ds_write_b64 v20, v[66:67] offset:4352                     // 0000000053FC: D89A1100 00004214
	ds_write_b64 v20, v[70:71] offset:6528                     // 000000005404: D89A1980 00004614
	s_waitcnt lgkmcnt(0)                                       // 00000000540C: BF8CC07F
	s_barrier                                                  // 000000005410: BF8A0000
	ds_read_b32 v58, v21                                       // 000000005414: D86C0000 3A000015
	ds_read_b32 v59, v21 offset:64                             // 00000000541C: D86C0040 3B000015
	ds_read_b32 v62, v21 offset:2176                           // 000000005424: D86C0880 3E000015
	ds_read_b32 v63, v21 offset:2240                           // 00000000542C: D86C08C0 3F000015
	ds_read_b32 v66, v21 offset:4352                           // 000000005434: D86C1100 42000015
	ds_read_b32 v67, v21 offset:4416                           // 00000000543C: D86C1140 43000015
	ds_read_b32 v70, v21 offset:6528                           // 000000005444: D86C1980 46000015
	ds_read_b32 v71, v21 offset:6592                           // 00000000544C: D86C19C0 47000015
	s_waitcnt lgkmcnt(0)                                       // 000000005454: BF8CC07F
	v_mov_b32_e32 v7, 0                                        // 000000005458: 7E0E0280
	s_mov_b64 exec, s[36:37]                                   // 00000000545C: BEFE0124
	v_mov_b32_e32 v6, v46                                      // 000000005460: 7E0C032E
	s_mov_b64 s[60:61], 0                                      // 000000005464: BEBC0180
	v_readlane_b32 s82, v3, 0                                  // 000000005468: D2890052 00010103
	s_and_b32 s82, s82, 0xffffff                               // 000000005470: 8652FF52 00FFFFFF
	s_cmp_lt_u32 s82, s66                                      // 000000005478: BF0A4252
	s_cselect_b32 s20, s36, s60                                // 00000000547C: 85143C24
	v_readlane_b32 s82, v3, 1                                  // 000000005480: D2890052 00010303
	s_and_b32 s82, s82, 0xffffff                               // 000000005488: 8652FF52 00FFFFFF
	s_cmp_lt_u32 s82, s66                                      // 000000005490: BF0A4252
	s_cselect_b32 s21, s36, s60                                // 000000005494: 85153C24
	s_mov_b64 exec, s[20:21]                                   // 000000005498: BEFE0114
	global_atomic_add_f32 v6, v58, s[8:9] offset:8             // 00000000549C: DD348008 00083A06
	s_mov_b64 exec, s[36:37]                                   // 0000000054A4: BEFE0124
	v_mov_b32_e32 v6, v47                                      // 0000000054A8: 7E0C032F
	s_mov_b64 s[60:61], 0                                      // 0000000054AC: BEBC0180
	v_readlane_b32 s82, v3, 2                                  // 0000000054B0: D2890052 00010503
	s_and_b32 s82, s82, 0xffffff                               // 0000000054B8: 8652FF52 00FFFFFF
	s_cmp_lt_u32 s82, s66                                      // 0000000054C0: BF0A4252
	s_cselect_b32 s20, s36, s60                                // 0000000054C4: 85143C24
	v_readlane_b32 s82, v3, 3                                  // 0000000054C8: D2890052 00010703
	s_and_b32 s82, s82, 0xffffff                               // 0000000054D0: 8652FF52 00FFFFFF
	s_cmp_lt_u32 s82, s66                                      // 0000000054D8: BF0A4252
	s_cselect_b32 s21, s36, s60                                // 0000000054DC: 85153C24
	s_mov_b64 exec, s[20:21]                                   // 0000000054E0: BEFE0114
	global_atomic_add_f32 v6, v59, s[8:9] offset:8             // 0000000054E4: DD348008 00083B06
	s_mov_b64 exec, s[36:37]                                   // 0000000054EC: BEFE0124
	v_mov_b32_e32 v6, v48                                      // 0000000054F0: 7E0C0330
	s_mov_b64 s[60:61], 0                                      // 0000000054F4: BEBC0180
	v_readlane_b32 s82, v3, 4                                  // 0000000054F8: D2890052 00010903
	s_and_b32 s82, s82, 0xffffff                               // 000000005500: 8652FF52 00FFFFFF
	s_cmp_lt_u32 s82, s66                                      // 000000005508: BF0A4252
	s_cselect_b32 s20, s36, s60                                // 00000000550C: 85143C24
	v_readlane_b32 s82, v3, 5                                  // 000000005510: D2890052 00010B03
	s_and_b32 s82, s82, 0xffffff                               // 000000005518: 8652FF52 00FFFFFF
	s_cmp_lt_u32 s82, s66                                      // 000000005520: BF0A4252
	s_cselect_b32 s21, s36, s60                                // 000000005524: 85153C24
	s_mov_b64 exec, s[20:21]                                   // 000000005528: BEFE0114
	global_atomic_add_f32 v6, v62, s[8:9] offset:8             // 00000000552C: DD348008 00083E06
	s_mov_b64 exec, s[36:37]                                   // 000000005534: BEFE0124
	v_mov_b32_e32 v6, v49                                      // 000000005538: 7E0C0331
	s_mov_b64 s[60:61], 0                                      // 00000000553C: BEBC0180
	v_readlane_b32 s82, v3, 6                                  // 000000005540: D2890052 00010D03
	s_and_b32 s82, s82, 0xffffff                               // 000000005548: 8652FF52 00FFFFFF
	s_cmp_lt_u32 s82, s66                                      // 000000005550: BF0A4252
	s_cselect_b32 s20, s36, s60                                // 000000005554: 85143C24
	v_readlane_b32 s82, v3, 7                                  // 000000005558: D2890052 00010F03
	s_and_b32 s82, s82, 0xffffff                               // 000000005560: 8652FF52 00FFFFFF
	s_cmp_lt_u32 s82, s66                                      // 000000005568: BF0A4252
	s_cselect_b32 s21, s36, s60                                // 00000000556C: 85153C24
	s_mov_b64 exec, s[20:21]                                   // 000000005570: BEFE0114
	global_atomic_add_f32 v6, v63, s[8:9] offset:8             // 000000005574: DD348008 00083F06
	s_mov_b64 exec, s[36:37]                                   // 00000000557C: BEFE0124
	v_mov_b32_e32 v6, v50                                      // 000000005580: 7E0C0332
	s_mov_b64 s[60:61], 0                                      // 000000005584: BEBC0180
	v_readlane_b32 s82, v3, 8                                  // 000000005588: D2890052 00011103
	s_and_b32 s82, s82, 0xffffff                               // 000000005590: 8652FF52 00FFFFFF
	s_cmp_lt_u32 s82, s66                                      // 000000005598: BF0A4252
	s_cselect_b32 s20, s36, s60                                // 00000000559C: 85143C24
	v_readlane_b32 s82, v3, 9                                  // 0000000055A0: D2890052 00011303
	s_and_b32 s82, s82, 0xffffff                               // 0000000055A8: 8652FF52 00FFFFFF
	s_cmp_lt_u32 s82, s66                                      // 0000000055B0: BF0A4252
	s_cselect_b32 s21, s36, s60                                // 0000000055B4: 85153C24
	s_mov_b64 exec, s[20:21]                                   // 0000000055B8: BEFE0114
	global_atomic_add_f32 v6, v66, s[8:9] offset:8             // 0000000055BC: DD348008 00084206
	s_mov_b64 exec, s[36:37]                                   // 0000000055C4: BEFE0124
	v_mov_b32_e32 v6, v51                                      // 0000000055C8: 7E0C0333
	s_mov_b64 s[60:61], 0                                      // 0000000055CC: BEBC0180
	v_readlane_b32 s82, v3, 10                                 // 0000000055D0: D2890052 00011503
	s_and_b32 s82, s82, 0xffffff                               // 0000000055D8: 8652FF52 00FFFFFF
	s_cmp_lt_u32 s82, s66                                      // 0000000055E0: BF0A4252
	s_cselect_b32 s20, s36, s60                                // 0000000055E4: 85143C24
	v_readlane_b32 s82, v3, 11                                 // 0000000055E8: D2890052 00011703
	s_and_b32 s82, s82, 0xffffff                               // 0000000055F0: 8652FF52 00FFFFFF
	s_cmp_lt_u32 s82, s66                                      // 0000000055F8: BF0A4252
	s_cselect_b32 s21, s36, s60                                // 0000000055FC: 85153C24
	s_mov_b64 exec, s[20:21]                                   // 000000005600: BEFE0114
	global_atomic_add_f32 v6, v67, s[8:9] offset:8             // 000000005604: DD348008 00084306
	s_mov_b64 exec, s[36:37]                                   // 00000000560C: BEFE0124
	v_mov_b32_e32 v6, v52                                      // 000000005610: 7E0C0334
	s_mov_b64 s[60:61], 0                                      // 000000005614: BEBC0180
	v_readlane_b32 s82, v3, 12                                 // 000000005618: D2890052 00011903
	s_and_b32 s82, s82, 0xffffff                               // 000000005620: 8652FF52 00FFFFFF
	s_cmp_lt_u32 s82, s66                                      // 000000005628: BF0A4252
	s_cselect_b32 s20, s36, s60                                // 00000000562C: 85143C24
	v_readlane_b32 s82, v3, 13                                 // 000000005630: D2890052 00011B03
	s_and_b32 s82, s82, 0xffffff                               // 000000005638: 8652FF52 00FFFFFF
	s_cmp_lt_u32 s82, s66                                      // 000000005640: BF0A4252
	s_cselect_b32 s21, s36, s60                                // 000000005644: 85153C24
	s_mov_b64 exec, s[20:21]                                   // 000000005648: BEFE0114
	global_atomic_add_f32 v6, v70, s[8:9] offset:8             // 00000000564C: DD348008 00084606
	s_mov_b64 exec, s[36:37]                                   // 000000005654: BEFE0124
	v_mov_b32_e32 v6, v53                                      // 000000005658: 7E0C0335
	s_mov_b64 s[60:61], 0                                      // 00000000565C: BEBC0180
	v_readlane_b32 s82, v3, 14                                 // 000000005660: D2890052 00011D03
	s_and_b32 s82, s82, 0xffffff                               // 000000005668: 8652FF52 00FFFFFF
	s_cmp_lt_u32 s82, s66                                      // 000000005670: BF0A4252
	s_cselect_b32 s20, s36, s60                                // 000000005674: 85143C24
	v_readlane_b32 s82, v3, 15                                 // 000000005678: D2890052 00011F03
	s_and_b32 s82, s82, 0xffffff                               // 000000005680: 8652FF52 00FFFFFF
	s_cmp_lt_u32 s82, s66                                      // 000000005688: BF0A4252
	s_cselect_b32 s21, s36, s60                                // 00000000568C: 85153C24
	s_mov_b64 exec, s[20:21]                                   // 000000005690: BEFE0114
	global_atomic_add_f32 v6, v71, s[8:9] offset:8             // 000000005694: DD348008 00084706
	s_mov_b64 exec, s[36:37]                                   // 00000000569C: BEFE0124
	ds_write_b64 v20, v[72:73]                                 // 0000000056A0: D89A0000 00004814
	ds_write_b64 v20, v[76:77] offset:2176                     // 0000000056A8: D89A0880 00004C14
	ds_write_b64 v20, v[80:81] offset:4352                     // 0000000056B0: D89A1100 00005014
	ds_write_b64 v20, v[84:85] offset:6528                     // 0000000056B8: D89A1980 00005414
	s_waitcnt lgkmcnt(0)                                       // 0000000056C0: BF8CC07F
	s_barrier                                                  // 0000000056C4: BF8A0000
	ds_read_b32 v72, v21                                       // 0000000056C8: D86C0000 48000015
	ds_read_b32 v73, v21 offset:64                             // 0000000056D0: D86C0040 49000015
	ds_read_b32 v76, v21 offset:2176                           // 0000000056D8: D86C0880 4C000015
	ds_read_b32 v77, v21 offset:2240                           // 0000000056E0: D86C08C0 4D000015
	ds_read_b32 v80, v21 offset:4352                           // 0000000056E8: D86C1100 50000015
	ds_read_b32 v81, v21 offset:4416                           // 0000000056F0: D86C1140 51000015
	ds_read_b32 v84, v21 offset:6528                           // 0000000056F8: D86C1980 54000015
	ds_read_b32 v85, v21 offset:6592                           // 000000005700: D86C19C0 55000015
	s_mul_i32 s60, s65, 4                                      // 000000005708: 923C8441
	s_add_u32 s8, s60, s8                                      // 00000000570C: 8008083C
	s_addc_u32 s9, 0, s9                                       // 000000005710: 82090980
	s_waitcnt lgkmcnt(0)                                       // 000000005714: BF8CC07F
	v_mov_b32_e32 v7, 0                                        // 000000005718: 7E0E0280
	s_mov_b64 exec, s[36:37]                                   // 00000000571C: BEFE0124
	v_mov_b32_e32 v6, v46                                      // 000000005720: 7E0C032E
	s_mov_b64 s[60:61], 0                                      // 000000005724: BEBC0180
	v_readlane_b32 s82, v3, 0                                  // 000000005728: D2890052 00010103
	s_and_b32 s82, s82, 0xffffff                               // 000000005730: 8652FF52 00FFFFFF
	s_cmp_lt_u32 s82, s66                                      // 000000005738: BF0A4252
	s_cselect_b32 s20, s36, s60                                // 00000000573C: 85143C24
	v_readlane_b32 s82, v3, 1                                  // 000000005740: D2890052 00010303
	s_and_b32 s82, s82, 0xffffff                               // 000000005748: 8652FF52 00FFFFFF
	s_cmp_lt_u32 s82, s66                                      // 000000005750: BF0A4252
	s_cselect_b32 s21, s36, s60                                // 000000005754: 85153C24
	s_mov_b64 exec, s[20:21]                                   // 000000005758: BEFE0114
	global_atomic_add_f32 v6, v72, s[8:9]                      // 00000000575C: DD348000 00084806
	s_mov_b64 exec, s[36:37]                                   // 000000005764: BEFE0124
	v_mov_b32_e32 v6, v47                                      // 000000005768: 7E0C032F
	s_mov_b64 s[60:61], 0                                      // 00000000576C: BEBC0180
	v_readlane_b32 s82, v3, 2                                  // 000000005770: D2890052 00010503
	s_and_b32 s82, s82, 0xffffff                               // 000000005778: 8652FF52 00FFFFFF
	s_cmp_lt_u32 s82, s66                                      // 000000005780: BF0A4252
	s_cselect_b32 s20, s36, s60                                // 000000005784: 85143C24
	v_readlane_b32 s82, v3, 3                                  // 000000005788: D2890052 00010703
	s_and_b32 s82, s82, 0xffffff                               // 000000005790: 8652FF52 00FFFFFF
	s_cmp_lt_u32 s82, s66                                      // 000000005798: BF0A4252
	s_cselect_b32 s21, s36, s60                                // 00000000579C: 85153C24
	s_mov_b64 exec, s[20:21]                                   // 0000000057A0: BEFE0114
	global_atomic_add_f32 v6, v73, s[8:9]                      // 0000000057A4: DD348000 00084906
	s_mov_b64 exec, s[36:37]                                   // 0000000057AC: BEFE0124
	v_mov_b32_e32 v6, v48                                      // 0000000057B0: 7E0C0330
	s_mov_b64 s[60:61], 0                                      // 0000000057B4: BEBC0180
	v_readlane_b32 s82, v3, 4                                  // 0000000057B8: D2890052 00010903
	s_and_b32 s82, s82, 0xffffff                               // 0000000057C0: 8652FF52 00FFFFFF
	s_cmp_lt_u32 s82, s66                                      // 0000000057C8: BF0A4252
	s_cselect_b32 s20, s36, s60                                // 0000000057CC: 85143C24
	v_readlane_b32 s82, v3, 5                                  // 0000000057D0: D2890052 00010B03
	s_and_b32 s82, s82, 0xffffff                               // 0000000057D8: 8652FF52 00FFFFFF
	s_cmp_lt_u32 s82, s66                                      // 0000000057E0: BF0A4252
	s_cselect_b32 s21, s36, s60                                // 0000000057E4: 85153C24
	s_mov_b64 exec, s[20:21]                                   // 0000000057E8: BEFE0114
	global_atomic_add_f32 v6, v76, s[8:9]                      // 0000000057EC: DD348000 00084C06
	s_mov_b64 exec, s[36:37]                                   // 0000000057F4: BEFE0124
	v_mov_b32_e32 v6, v49                                      // 0000000057F8: 7E0C0331
	s_mov_b64 s[60:61], 0                                      // 0000000057FC: BEBC0180
	v_readlane_b32 s82, v3, 6                                  // 000000005800: D2890052 00010D03
	s_and_b32 s82, s82, 0xffffff                               // 000000005808: 8652FF52 00FFFFFF
	s_cmp_lt_u32 s82, s66                                      // 000000005810: BF0A4252
	s_cselect_b32 s20, s36, s60                                // 000000005814: 85143C24
	v_readlane_b32 s82, v3, 7                                  // 000000005818: D2890052 00010F03
	s_and_b32 s82, s82, 0xffffff                               // 000000005820: 8652FF52 00FFFFFF
	s_cmp_lt_u32 s82, s66                                      // 000000005828: BF0A4252
	s_cselect_b32 s21, s36, s60                                // 00000000582C: 85153C24
	s_mov_b64 exec, s[20:21]                                   // 000000005830: BEFE0114
	global_atomic_add_f32 v6, v77, s[8:9]                      // 000000005834: DD348000 00084D06
	s_mov_b64 exec, s[36:37]                                   // 00000000583C: BEFE0124
	v_mov_b32_e32 v6, v50                                      // 000000005840: 7E0C0332
	s_mov_b64 s[60:61], 0                                      // 000000005844: BEBC0180
	v_readlane_b32 s82, v3, 8                                  // 000000005848: D2890052 00011103
	s_and_b32 s82, s82, 0xffffff                               // 000000005850: 8652FF52 00FFFFFF
	s_cmp_lt_u32 s82, s66                                      // 000000005858: BF0A4252
	s_cselect_b32 s20, s36, s60                                // 00000000585C: 85143C24
	v_readlane_b32 s82, v3, 9                                  // 000000005860: D2890052 00011303
	s_and_b32 s82, s82, 0xffffff                               // 000000005868: 8652FF52 00FFFFFF
	s_cmp_lt_u32 s82, s66                                      // 000000005870: BF0A4252
	s_cselect_b32 s21, s36, s60                                // 000000005874: 85153C24
	s_mov_b64 exec, s[20:21]                                   // 000000005878: BEFE0114
	global_atomic_add_f32 v6, v80, s[8:9]                      // 00000000587C: DD348000 00085006
	s_mov_b64 exec, s[36:37]                                   // 000000005884: BEFE0124
	v_mov_b32_e32 v6, v51                                      // 000000005888: 7E0C0333
	s_mov_b64 s[60:61], 0                                      // 00000000588C: BEBC0180
	v_readlane_b32 s82, v3, 10                                 // 000000005890: D2890052 00011503
	s_and_b32 s82, s82, 0xffffff                               // 000000005898: 8652FF52 00FFFFFF
	s_cmp_lt_u32 s82, s66                                      // 0000000058A0: BF0A4252
	s_cselect_b32 s20, s36, s60                                // 0000000058A4: 85143C24
	v_readlane_b32 s82, v3, 11                                 // 0000000058A8: D2890052 00011703
	s_and_b32 s82, s82, 0xffffff                               // 0000000058B0: 8652FF52 00FFFFFF
	s_cmp_lt_u32 s82, s66                                      // 0000000058B8: BF0A4252
	s_cselect_b32 s21, s36, s60                                // 0000000058BC: 85153C24
	s_mov_b64 exec, s[20:21]                                   // 0000000058C0: BEFE0114
	global_atomic_add_f32 v6, v81, s[8:9]                      // 0000000058C4: DD348000 00085106
	s_mov_b64 exec, s[36:37]                                   // 0000000058CC: BEFE0124
	v_mov_b32_e32 v6, v52                                      // 0000000058D0: 7E0C0334
	s_mov_b64 s[60:61], 0                                      // 0000000058D4: BEBC0180
	v_readlane_b32 s82, v3, 12                                 // 0000000058D8: D2890052 00011903
	s_and_b32 s82, s82, 0xffffff                               // 0000000058E0: 8652FF52 00FFFFFF
	s_cmp_lt_u32 s82, s66                                      // 0000000058E8: BF0A4252
	s_cselect_b32 s20, s36, s60                                // 0000000058EC: 85143C24
	v_readlane_b32 s82, v3, 13                                 // 0000000058F0: D2890052 00011B03
	s_and_b32 s82, s82, 0xffffff                               // 0000000058F8: 8652FF52 00FFFFFF
	s_cmp_lt_u32 s82, s66                                      // 000000005900: BF0A4252
	s_cselect_b32 s21, s36, s60                                // 000000005904: 85153C24
	s_mov_b64 exec, s[20:21]                                   // 000000005908: BEFE0114
	global_atomic_add_f32 v6, v84, s[8:9]                      // 00000000590C: DD348000 00085406
	s_mov_b64 exec, s[36:37]                                   // 000000005914: BEFE0124
	v_mov_b32_e32 v6, v53                                      // 000000005918: 7E0C0335
	s_mov_b64 s[60:61], 0                                      // 00000000591C: BEBC0180
	v_readlane_b32 s82, v3, 14                                 // 000000005920: D2890052 00011D03
	s_and_b32 s82, s82, 0xffffff                               // 000000005928: 8652FF52 00FFFFFF
	s_cmp_lt_u32 s82, s66                                      // 000000005930: BF0A4252
	s_cselect_b32 s20, s36, s60                                // 000000005934: 85143C24
	v_readlane_b32 s82, v3, 15                                 // 000000005938: D2890052 00011F03
	s_and_b32 s82, s82, 0xffffff                               // 000000005940: 8652FF52 00FFFFFF
	s_cmp_lt_u32 s82, s66                                      // 000000005948: BF0A4252
	s_cselect_b32 s21, s36, s60                                // 00000000594C: 85153C24
	s_mov_b64 exec, s[20:21]                                   // 000000005950: BEFE0114
	global_atomic_add_f32 v6, v85, s[8:9]                      // 000000005954: DD348000 00085506
	s_mov_b64 exec, s[36:37]                                   // 00000000595C: BEFE0124
	ds_write_b64 v20, v[74:75]                                 // 000000005960: D89A0000 00004A14
	ds_write_b64 v20, v[78:79] offset:2176                     // 000000005968: D89A0880 00004E14
	ds_write_b64 v20, v[82:83] offset:4352                     // 000000005970: D89A1100 00005214
	ds_write_b64 v20, v[86:87] offset:6528                     // 000000005978: D89A1980 00005614
	s_waitcnt lgkmcnt(0)                                       // 000000005980: BF8CC07F
	s_barrier                                                  // 000000005984: BF8A0000
	ds_read_b32 v74, v21                                       // 000000005988: D86C0000 4A000015
	ds_read_b32 v75, v21 offset:64                             // 000000005990: D86C0040 4B000015
	ds_read_b32 v78, v21 offset:2176                           // 000000005998: D86C0880 4E000015
	ds_read_b32 v79, v21 offset:2240                           // 0000000059A0: D86C08C0 4F000015
	ds_read_b32 v82, v21 offset:4352                           // 0000000059A8: D86C1100 52000015
	ds_read_b32 v83, v21 offset:4416                           // 0000000059B0: D86C1140 53000015
	ds_read_b32 v86, v21 offset:6528                           // 0000000059B8: D86C1980 56000015
	ds_read_b32 v87, v21 offset:6592                           // 0000000059C0: D86C19C0 57000015
	s_waitcnt lgkmcnt(0)                                       // 0000000059C8: BF8CC07F
	v_mov_b32_e32 v7, 0                                        // 0000000059CC: 7E0E0280
	s_mov_b64 exec, s[36:37]                                   // 0000000059D0: BEFE0124
	v_mov_b32_e32 v6, v46                                      // 0000000059D4: 7E0C032E
	s_mov_b64 s[60:61], 0                                      // 0000000059D8: BEBC0180
	v_readlane_b32 s82, v3, 0                                  // 0000000059DC: D2890052 00010103
	s_and_b32 s82, s82, 0xffffff                               // 0000000059E4: 8652FF52 00FFFFFF
	s_cmp_lt_u32 s82, s66                                      // 0000000059EC: BF0A4252
	s_cselect_b32 s20, s36, s60                                // 0000000059F0: 85143C24
	v_readlane_b32 s82, v3, 1                                  // 0000000059F4: D2890052 00010303
	s_and_b32 s82, s82, 0xffffff                               // 0000000059FC: 8652FF52 00FFFFFF
	s_cmp_lt_u32 s82, s66                                      // 000000005A04: BF0A4252
	s_cselect_b32 s21, s36, s60                                // 000000005A08: 85153C24
	s_mov_b64 exec, s[20:21]                                   // 000000005A0C: BEFE0114
	global_atomic_add_f32 v6, v74, s[8:9] offset:8             // 000000005A10: DD348008 00084A06
	s_mov_b64 exec, s[36:37]                                   // 000000005A18: BEFE0124
	v_mov_b32_e32 v6, v47                                      // 000000005A1C: 7E0C032F
	s_mov_b64 s[60:61], 0                                      // 000000005A20: BEBC0180
	v_readlane_b32 s82, v3, 2                                  // 000000005A24: D2890052 00010503
	s_and_b32 s82, s82, 0xffffff                               // 000000005A2C: 8652FF52 00FFFFFF
	s_cmp_lt_u32 s82, s66                                      // 000000005A34: BF0A4252
	s_cselect_b32 s20, s36, s60                                // 000000005A38: 85143C24
	v_readlane_b32 s82, v3, 3                                  // 000000005A3C: D2890052 00010703
	s_and_b32 s82, s82, 0xffffff                               // 000000005A44: 8652FF52 00FFFFFF
	s_cmp_lt_u32 s82, s66                                      // 000000005A4C: BF0A4252
	s_cselect_b32 s21, s36, s60                                // 000000005A50: 85153C24
	s_mov_b64 exec, s[20:21]                                   // 000000005A54: BEFE0114
	global_atomic_add_f32 v6, v75, s[8:9] offset:8             // 000000005A58: DD348008 00084B06
	s_mov_b64 exec, s[36:37]                                   // 000000005A60: BEFE0124
	v_mov_b32_e32 v6, v48                                      // 000000005A64: 7E0C0330
	s_mov_b64 s[60:61], 0                                      // 000000005A68: BEBC0180
	v_readlane_b32 s82, v3, 4                                  // 000000005A6C: D2890052 00010903
	s_and_b32 s82, s82, 0xffffff                               // 000000005A74: 8652FF52 00FFFFFF
	s_cmp_lt_u32 s82, s66                                      // 000000005A7C: BF0A4252
	s_cselect_b32 s20, s36, s60                                // 000000005A80: 85143C24
	v_readlane_b32 s82, v3, 5                                  // 000000005A84: D2890052 00010B03
	s_and_b32 s82, s82, 0xffffff                               // 000000005A8C: 8652FF52 00FFFFFF
	s_cmp_lt_u32 s82, s66                                      // 000000005A94: BF0A4252
	s_cselect_b32 s21, s36, s60                                // 000000005A98: 85153C24
	s_mov_b64 exec, s[20:21]                                   // 000000005A9C: BEFE0114
	global_atomic_add_f32 v6, v78, s[8:9] offset:8             // 000000005AA0: DD348008 00084E06
	s_mov_b64 exec, s[36:37]                                   // 000000005AA8: BEFE0124
	v_mov_b32_e32 v6, v49                                      // 000000005AAC: 7E0C0331
	s_mov_b64 s[60:61], 0                                      // 000000005AB0: BEBC0180
	v_readlane_b32 s82, v3, 6                                  // 000000005AB4: D2890052 00010D03
	s_and_b32 s82, s82, 0xffffff                               // 000000005ABC: 8652FF52 00FFFFFF
	s_cmp_lt_u32 s82, s66                                      // 000000005AC4: BF0A4252
	s_cselect_b32 s20, s36, s60                                // 000000005AC8: 85143C24
	v_readlane_b32 s82, v3, 7                                  // 000000005ACC: D2890052 00010F03
	s_and_b32 s82, s82, 0xffffff                               // 000000005AD4: 8652FF52 00FFFFFF
	s_cmp_lt_u32 s82, s66                                      // 000000005ADC: BF0A4252
	s_cselect_b32 s21, s36, s60                                // 000000005AE0: 85153C24
	s_mov_b64 exec, s[20:21]                                   // 000000005AE4: BEFE0114
	global_atomic_add_f32 v6, v79, s[8:9] offset:8             // 000000005AE8: DD348008 00084F06
	s_mov_b64 exec, s[36:37]                                   // 000000005AF0: BEFE0124
	v_mov_b32_e32 v6, v50                                      // 000000005AF4: 7E0C0332
	s_mov_b64 s[60:61], 0                                      // 000000005AF8: BEBC0180
	v_readlane_b32 s82, v3, 8                                  // 000000005AFC: D2890052 00011103
	s_and_b32 s82, s82, 0xffffff                               // 000000005B04: 8652FF52 00FFFFFF
	s_cmp_lt_u32 s82, s66                                      // 000000005B0C: BF0A4252
	s_cselect_b32 s20, s36, s60                                // 000000005B10: 85143C24
	v_readlane_b32 s82, v3, 9                                  // 000000005B14: D2890052 00011303
	s_and_b32 s82, s82, 0xffffff                               // 000000005B1C: 8652FF52 00FFFFFF
	s_cmp_lt_u32 s82, s66                                      // 000000005B24: BF0A4252
	s_cselect_b32 s21, s36, s60                                // 000000005B28: 85153C24
	s_mov_b64 exec, s[20:21]                                   // 000000005B2C: BEFE0114
	global_atomic_add_f32 v6, v82, s[8:9] offset:8             // 000000005B30: DD348008 00085206
	s_mov_b64 exec, s[36:37]                                   // 000000005B38: BEFE0124
	v_mov_b32_e32 v6, v51                                      // 000000005B3C: 7E0C0333
	s_mov_b64 s[60:61], 0                                      // 000000005B40: BEBC0180
	v_readlane_b32 s82, v3, 10                                 // 000000005B44: D2890052 00011503
	s_and_b32 s82, s82, 0xffffff                               // 000000005B4C: 8652FF52 00FFFFFF
	s_cmp_lt_u32 s82, s66                                      // 000000005B54: BF0A4252
	s_cselect_b32 s20, s36, s60                                // 000000005B58: 85143C24
	v_readlane_b32 s82, v3, 11                                 // 000000005B5C: D2890052 00011703
	s_and_b32 s82, s82, 0xffffff                               // 000000005B64: 8652FF52 00FFFFFF
	s_cmp_lt_u32 s82, s66                                      // 000000005B6C: BF0A4252
	s_cselect_b32 s21, s36, s60                                // 000000005B70: 85153C24
	s_mov_b64 exec, s[20:21]                                   // 000000005B74: BEFE0114
	global_atomic_add_f32 v6, v83, s[8:9] offset:8             // 000000005B78: DD348008 00085306
	s_mov_b64 exec, s[36:37]                                   // 000000005B80: BEFE0124
	v_mov_b32_e32 v6, v52                                      // 000000005B84: 7E0C0334
	s_mov_b64 s[60:61], 0                                      // 000000005B88: BEBC0180
	v_readlane_b32 s82, v3, 12                                 // 000000005B8C: D2890052 00011903
	s_and_b32 s82, s82, 0xffffff                               // 000000005B94: 8652FF52 00FFFFFF
	s_cmp_lt_u32 s82, s66                                      // 000000005B9C: BF0A4252
	s_cselect_b32 s20, s36, s60                                // 000000005BA0: 85143C24
	v_readlane_b32 s82, v3, 13                                 // 000000005BA4: D2890052 00011B03
	s_and_b32 s82, s82, 0xffffff                               // 000000005BAC: 8652FF52 00FFFFFF
	s_cmp_lt_u32 s82, s66                                      // 000000005BB4: BF0A4252
	s_cselect_b32 s21, s36, s60                                // 000000005BB8: 85153C24
	s_mov_b64 exec, s[20:21]                                   // 000000005BBC: BEFE0114
	global_atomic_add_f32 v6, v86, s[8:9] offset:8             // 000000005BC0: DD348008 00085606
	s_mov_b64 exec, s[36:37]                                   // 000000005BC8: BEFE0124
	v_mov_b32_e32 v6, v53                                      // 000000005BCC: 7E0C0335
	s_mov_b64 s[60:61], 0                                      // 000000005BD0: BEBC0180
	v_readlane_b32 s82, v3, 14                                 // 000000005BD4: D2890052 00011D03
	s_and_b32 s82, s82, 0xffffff                               // 000000005BDC: 8652FF52 00FFFFFF
	s_cmp_lt_u32 s82, s66                                      // 000000005BE4: BF0A4252
	s_cselect_b32 s20, s36, s60                                // 000000005BE8: 85143C24
	v_readlane_b32 s82, v3, 15                                 // 000000005BEC: D2890052 00011F03
	s_and_b32 s82, s82, 0xffffff                               // 000000005BF4: 8652FF52 00FFFFFF
	s_cmp_lt_u32 s82, s66                                      // 000000005BFC: BF0A4252
	s_cselect_b32 s21, s36, s60                                // 000000005C00: 85153C24
	s_mov_b64 exec, s[20:21]                                   // 000000005C04: BEFE0114
	global_atomic_add_f32 v6, v87, s[8:9] offset:8             // 000000005C08: DD348008 00085706
	s_mov_b64 exec, s[36:37]                                   // 000000005C10: BEFE0124
	s_branch label_16D1                                        // 000000005C14: BF820A48

0000000000005c18 <label_0C89>:
	s_waitcnt vmcnt(10) lgkmcnt(0)                             // 000000005C18: BF8C007A
	v_mfma_f32_16x16x32_fp8_fp8 v[56:59], a[64:65], a[0:1], v[56:59]// 000000005C1C: D3F30038 1CE20140
	buffer_load_dwordx4 a[80:83], v54, s[24:27], 0 offen       // 000000005C24: E05C1000 80865036
	v_mfma_f32_16x16x32_fp8_fp8 v[56:59], a[66:67], a[2:3], v[56:59]// 000000005C2C: D3F30038 1CE20542
	v_mfma_f32_16x16x32_fp8_fp8 v[56:59], a[68:69], a[4:5], v[56:59]// 000000005C34: D3F30038 1CE20944
	v_mfma_f32_16x16x32_fp8_fp8 v[56:59], a[70:71], a[6:7], v[56:59]// 000000005C3C: D3F30038 1CE20D46
	v_mfma_f32_16x16x32_fp8_fp8 v[60:63], a[64:65], a[8:9], v[60:63]// 000000005C44: D3F3003C 1CF21140
	buffer_load_dwordx4 a[84:87], v54, s[24:27], 0 offen offset:1024// 000000005C4C: E05C1400 80865436
	buffer_load_dword v46, s[20:23], 0 offen lds               // 000000005C54: E0511000 8005002E
	s_add_u32 m0, 0x100, s50                                   // 000000005C5C: 807C32FF 00000100
	v_mfma_f32_16x16x32_fp8_fp8 v[60:63], a[66:67], a[10:11], v[60:63]// 000000005C64: D3F3003C 1CF21542
	v_mfma_f32_16x16x32_fp8_fp8 v[60:63], a[68:69], a[12:13], v[60:63]// 000000005C6C: D3F3003C 1CF21944
	buffer_load_dword v47, s[20:23], 0 offen lds               // 000000005C74: E0511000 8005002F
	s_add_u32 m0, 0x200, s50                                   // 000000005C7C: 807C32FF 00000200
	v_mfma_f32_16x16x32_fp8_fp8 v[60:63], a[70:71], a[14:15], v[60:63]// 000000005C84: D3F3003C 1CF21D46
	v_mfma_f32_16x16x32_fp8_fp8 v[64:67], a[64:65], a[16:17], v[64:67]// 000000005C8C: D3F30040 1D022140
	buffer_load_dword v48, s[20:23], 0 offen lds               // 000000005C94: E0511000 80050030
	s_add_u32 m0, 0x300, s50                                   // 000000005C9C: 807C32FF 00000300
	v_mfma_f32_16x16x32_fp8_fp8 v[64:67], a[66:67], a[18:19], v[64:67]// 000000005CA4: D3F30040 1D022542
	v_mfma_f32_16x16x32_fp8_fp8 v[64:67], a[68:69], a[20:21], v[64:67]// 000000005CAC: D3F30040 1D022944
	buffer_load_dword v49, s[20:23], 0 offen lds               // 000000005CB4: E0511000 80050031
	s_add_u32 m0, 0x400, s50                                   // 000000005CBC: 807C32FF 00000400
	v_mfma_f32_16x16x32_fp8_fp8 v[64:67], a[70:71], a[22:23], v[64:67]// 000000005CC4: D3F30040 1D022D46
	v_mfma_f32_16x16x32_fp8_fp8 v[68:71], a[64:65], a[24:25], v[68:71]// 000000005CCC: D3F30044 1D123140
	buffer_load_dword v50, s[20:23], 0 offen lds               // 000000005CD4: E0511000 80050032
	s_add_u32 m0, 0x500, s50                                   // 000000005CDC: 807C32FF 00000500
	v_mfma_f32_16x16x32_fp8_fp8 v[68:71], a[66:67], a[26:27], v[68:71]// 000000005CE4: D3F30044 1D123542
	v_mfma_f32_16x16x32_fp8_fp8 v[68:71], a[68:69], a[28:29], v[68:71]// 000000005CEC: D3F30044 1D123944
	buffer_load_dword v51, s[20:23], 0 offen lds               // 000000005CF4: E0511000 80050033
	s_add_u32 m0, 0x600, s50                                   // 000000005CFC: 807C32FF 00000600
	v_mfma_f32_16x16x32_fp8_fp8 v[68:71], a[70:71], a[30:31], v[68:71]// 000000005D04: D3F30044 1D123D46
	buffer_load_dword v52, s[20:23], 0 offen lds               // 000000005D0C: E0511000 80050034
	s_add_u32 m0, 0x700, s50                                   // 000000005D14: 807C32FF 00000700
	buffer_load_dword v53, s[20:23], 0 offen lds               // 000000005D1C: E0511000 80050035
	s_add_u32 m0, 0, s48                                       // 000000005D24: 807C3080
	s_waitcnt vmcnt(10)                                        // 000000005D28: BF8C0F7A
	s_barrier                                                  // 000000005D2C: BF8A0000
	v_mfma_f32_16x16x32_fp8_fp8 v[72:75], a[72:73], a[0:1], v[72:75]// 000000005D30: D3F30048 1D220148
	buffer_load_dwordx4 a[64:67], v54, s[84:87], 0 offen       // 000000005D38: E05C1000 80954036
	v_mfma_f32_16x16x32_fp8_fp8 v[72:75], a[74:75], a[2:3], v[72:75]// 000000005D40: D3F30048 1D22054A
	v_mfma_f32_16x16x32_fp8_fp8 v[72:75], a[76:77], a[4:5], v[72:75]// 000000005D48: D3F30048 1D22094C
	ds_read_b128 a[32:35], v2 offset:8320                      // 000000005D50: DBFE2080 20000002
	ds_read_b128 a[36:39], v2 offset:8384                      // 000000005D58: DBFE20C0 24000002
	v_mfma_f32_16x16x32_fp8_fp8 v[72:75], a[78:79], a[6:7], v[72:75]// 000000005D60: D3F30048 1D220D4E
	v_mfma_f32_16x16x32_fp8_fp8 v[76:79], a[72:73], a[8:9], v[76:79]// 000000005D68: D3F3004C 1D321148
	buffer_load_dwordx4 a[68:71], v54, s[84:87], 0 offen offset:1024// 000000005D70: E05C1400 80954436
	v_mfma_f32_16x16x32_fp8_fp8 v[76:79], a[74:75], a[10:11], v[76:79]// 000000005D78: D3F3004C 1D32154A
	v_mfma_f32_16x16x32_fp8_fp8 v[76:79], a[76:77], a[12:13], v[76:79]// 000000005D80: D3F3004C 1D32194C
	ds_read_b128 a[40:43], v2 offset:8832                      // 000000005D88: DBFE2280 28000002
	ds_read_b128 a[44:47], v2 offset:8896                      // 000000005D90: DBFE22C0 2C000002
	v_mfma_f32_16x16x32_fp8_fp8 v[76:79], a[78:79], a[14:15], v[76:79]// 000000005D98: D3F3004C 1D321D4E
	v_mfma_f32_16x16x32_fp8_fp8 v[80:83], a[72:73], a[16:17], v[80:83]// 000000005DA0: D3F30050 1D422148
	s_add_u32 s60, 0x180, s80                                  // 000000005DA8: 803C50FF 00000180
	s_cmp_lt_u32 s60, s81                                      // 000000005DB0: BF0A513C
	s_cselect_b32 s57, s57, 0                                  // 000000005DB4: 85398039
	v_mfma_f32_16x16x32_fp8_fp8 v[80:83], a[74:75], a[18:19], v[80:83]// 000000005DB8: D3F30050 1D42254A
	s_add_u32 s60, 0x100, s80                                  // 000000005DC0: 803C50FF 00000100
	s_cmp_lt_u32 s60, s81                                      // 000000005DC8: BF0A513C
	s_cselect_b32 s58, s58, 0                                  // 000000005DCC: 853A803A
	v_mfma_f32_16x16x32_fp8_fp8 v[80:83], a[76:77], a[20:21], v[80:83]// 000000005DD0: D3F30050 1D42294C
	ds_read_b128 a[48:51], v2 offset:9344                      // 000000005DD8: DBFE2480 30000002
	ds_read_b128 a[52:55], v2 offset:9408                      // 000000005DE0: DBFE24C0 34000002
	s_add_u32 s60, 0x100, s80                                  // 000000005DE8: 803C50FF 00000100
	s_cmp_lt_u32 s60, s81                                      // 000000005DF0: BF0A513C
	s_cselect_b32 s83, s83, 0                                  // 000000005DF4: 85538053
	v_mfma_f32_16x16x32_fp8_fp8 v[80:83], a[78:79], a[22:23], v[80:83]// 000000005DF8: D3F30050 1D422D4E
	s_add_u32 s24, s58, s24                                    // 000000005E00: 8018183A
	s_addc_u32 s25, 0, s25                                     // 000000005E04: 82191980
	v_mfma_f32_16x16x32_fp8_fp8 v[84:87], a[72:73], a[24:25], v[84:87]// 000000005E08: D3F30054 1D523148
	s_add_u32 s20, s57, s20                                    // 000000005E10: 80141439
	s_addc_u32 s21, 0, s21                                     // 000000005E14: 82151580
	v_mfma_f32_16x16x32_fp8_fp8 v[84:87], a[74:75], a[26:27], v[84:87]// 000000005E18: D3F30054 1D52354A
	s_add_u32 s84, s83, s84                                    // 000000005E20: 80545453
	s_addc_u32 s85, 0, s85                                     // 000000005E24: 82555580
	v_mfma_f32_16x16x32_fp8_fp8 v[84:87], a[76:77], a[28:29], v[84:87]// 000000005E28: D3F30054 1D52394C
	ds_read_b128 a[56:59], v2 offset:9856                      // 000000005E30: DBFE2680 38000002
	ds_read_b128 a[60:63], v2 offset:9920                      // 000000005E38: DBFE26C0 3C000002
	v_mfma_f32_16x16x32_fp8_fp8 v[84:87], a[78:79], a[30:31], v[84:87]// 000000005E40: D3F30054 1D523D4E
	s_addk_i32 s80, 0x80                                       // 000000005E48: B7500080
	s_cmp_lt_i32 s80, s81                                      // 000000005E4C: BF045150
	s_cbranch_scc0 label_0FE4                                  // 000000005E50: BF8402CC
	s_waitcnt vmcnt(10) lgkmcnt(0)                             // 000000005E54: BF8C007A
	v_mfma_f32_16x16x32_fp8_fp8 v[56:59], a[80:81], a[32:33], v[56:59]// 000000005E58: D3F30038 1CE24150
	buffer_load_dwordx4 a[72:75], v54, s[24:27], 0 offen       // 000000005E60: E05C1000 80864836
	v_mfma_f32_16x16x32_fp8_fp8 v[56:59], a[82:83], a[34:35], v[56:59]// 000000005E68: D3F30038 1CE24552
	v_mfma_f32_16x16x32_fp8_fp8 v[56:59], a[84:85], a[36:37], v[56:59]// 000000005E70: D3F30038 1CE24954
	v_mfma_f32_16x16x32_fp8_fp8 v[56:59], a[86:87], a[38:39], v[56:59]// 000000005E78: D3F30038 1CE24D56
	v_mfma_f32_16x16x32_fp8_fp8 v[60:63], a[80:81], a[40:41], v[60:63]// 000000005E80: D3F3003C 1CF25150
	buffer_load_dwordx4 a[76:79], v54, s[24:27], 0 offen offset:1024// 000000005E88: E05C1400 80864C36
	buffer_load_dword v46, s[20:23], 0 offen lds               // 000000005E90: E0511000 8005002E
	s_add_u32 m0, 0x100, s48                                   // 000000005E98: 807C30FF 00000100
	v_mfma_f32_16x16x32_fp8_fp8 v[60:63], a[82:83], a[42:43], v[60:63]// 000000005EA0: D3F3003C 1CF25552
	v_mfma_f32_16x16x32_fp8_fp8 v[60:63], a[84:85], a[44:45], v[60:63]// 000000005EA8: D3F3003C 1CF25954
	buffer_load_dword v47, s[20:23], 0 offen lds               // 000000005EB0: E0511000 8005002F
	s_add_u32 m0, 0x200, s48                                   // 000000005EB8: 807C30FF 00000200
	v_mfma_f32_16x16x32_fp8_fp8 v[60:63], a[86:87], a[46:47], v[60:63]// 000000005EC0: D3F3003C 1CF25D56
	v_mfma_f32_16x16x32_fp8_fp8 v[64:67], a[80:81], a[48:49], v[64:67]// 000000005EC8: D3F30040 1D026150
	buffer_load_dword v48, s[20:23], 0 offen lds               // 000000005ED0: E0511000 80050030
	s_add_u32 m0, 0x300, s48                                   // 000000005ED8: 807C30FF 00000300
	v_mfma_f32_16x16x32_fp8_fp8 v[64:67], a[82:83], a[50:51], v[64:67]// 000000005EE0: D3F30040 1D026552
	v_mfma_f32_16x16x32_fp8_fp8 v[64:67], a[84:85], a[52:53], v[64:67]// 000000005EE8: D3F30040 1D026954
	buffer_load_dword v49, s[20:23], 0 offen lds               // 000000005EF0: E0511000 80050031
	s_add_u32 m0, 0x400, s48                                   // 000000005EF8: 807C30FF 00000400
	v_mfma_f32_16x16x32_fp8_fp8 v[64:67], a[86:87], a[54:55], v[64:67]// 000000005F00: D3F30040 1D026D56
	v_mfma_f32_16x16x32_fp8_fp8 v[68:71], a[80:81], a[56:57], v[68:71]// 000000005F08: D3F30044 1D127150
	buffer_load_dword v50, s[20:23], 0 offen lds               // 000000005F10: E0511000 80050032
	s_add_u32 m0, 0x500, s48                                   // 000000005F18: 807C30FF 00000500
	v_mfma_f32_16x16x32_fp8_fp8 v[68:71], a[82:83], a[58:59], v[68:71]// 000000005F20: D3F30044 1D127552
	v_mfma_f32_16x16x32_fp8_fp8 v[68:71], a[84:85], a[60:61], v[68:71]// 000000005F28: D3F30044 1D127954
	buffer_load_dword v51, s[20:23], 0 offen lds               // 000000005F30: E0511000 80050033
	s_add_u32 m0, 0x600, s48                                   // 000000005F38: 807C30FF 00000600
	v_mfma_f32_16x16x32_fp8_fp8 v[68:71], a[86:87], a[62:63], v[68:71]// 000000005F40: D3F30044 1D127D56
	buffer_load_dword v52, s[20:23], 0 offen lds               // 000000005F48: E0511000 80050034
	s_add_u32 m0, 0x700, s48                                   // 000000005F50: 807C30FF 00000700
	buffer_load_dword v53, s[20:23], 0 offen lds               // 000000005F58: E0511000 80050035
	s_add_u32 m0, 0, s49                                       // 000000005F60: 807C3180
	s_waitcnt vmcnt(10)                                        // 000000005F64: BF8C0F7A
	s_barrier                                                  // 000000005F68: BF8A0000
	v_mfma_f32_16x16x32_fp8_fp8 v[72:75], a[64:65], a[32:33], v[72:75]// 000000005F6C: D3F30048 1D224140
	buffer_load_dwordx4 a[80:83], v54, s[84:87], 0 offen       // 000000005F74: E05C1000 80955036
	v_mfma_f32_16x16x32_fp8_fp8 v[72:75], a[66:67], a[34:35], v[72:75]// 000000005F7C: D3F30048 1D224542
	v_mfma_f32_16x16x32_fp8_fp8 v[72:75], a[68:69], a[36:37], v[72:75]// 000000005F84: D3F30048 1D224944
	ds_read_b128 a[0:3], v2 offset:16640                       // 000000005F8C: DBFE4100 00000002
	ds_read_b128 a[4:7], v2 offset:16704                       // 000000005F94: DBFE4140 04000002
	v_mfma_f32_16x16x32_fp8_fp8 v[72:75], a[70:71], a[38:39], v[72:75]// 000000005F9C: D3F30048 1D224D46
	v_mfma_f32_16x16x32_fp8_fp8 v[76:79], a[64:65], a[40:41], v[76:79]// 000000005FA4: D3F3004C 1D325140
	buffer_load_dwordx4 a[84:87], v54, s[84:87], 0 offen offset:1024// 000000005FAC: E05C1400 80955436
	v_mfma_f32_16x16x32_fp8_fp8 v[76:79], a[66:67], a[42:43], v[76:79]// 000000005FB4: D3F3004C 1D325542
	v_mfma_f32_16x16x32_fp8_fp8 v[76:79], a[68:69], a[44:45], v[76:79]// 000000005FBC: D3F3004C 1D325944
	ds_read_b128 a[8:11], v2 offset:17152                      // 000000005FC4: DBFE4300 08000002
	ds_read_b128 a[12:15], v2 offset:17216                     // 000000005FCC: DBFE4340 0C000002
	v_mfma_f32_16x16x32_fp8_fp8 v[76:79], a[70:71], a[46:47], v[76:79]// 000000005FD4: D3F3004C 1D325D46
	v_mfma_f32_16x16x32_fp8_fp8 v[80:83], a[64:65], a[48:49], v[80:83]// 000000005FDC: D3F30050 1D426140
	s_add_u32 s60, 0x180, s80                                  // 000000005FE4: 803C50FF 00000180
	s_cmp_lt_u32 s60, s81                                      // 000000005FEC: BF0A513C
	s_cselect_b32 s57, s57, 0                                  // 000000005FF0: 85398039
	v_mfma_f32_16x16x32_fp8_fp8 v[80:83], a[66:67], a[50:51], v[80:83]// 000000005FF4: D3F30050 1D426542
	s_add_u32 s60, 0x100, s80                                  // 000000005FFC: 803C50FF 00000100
	s_cmp_lt_u32 s60, s81                                      // 000000006004: BF0A513C
	s_cselect_b32 s58, s58, 0                                  // 000000006008: 853A803A
	v_mfma_f32_16x16x32_fp8_fp8 v[80:83], a[68:69], a[52:53], v[80:83]// 00000000600C: D3F30050 1D426944
	ds_read_b128 a[16:19], v2 offset:17664                     // 000000006014: DBFE4500 10000002
	ds_read_b128 a[20:23], v2 offset:17728                     // 00000000601C: DBFE4540 14000002
	s_add_u32 s60, 0x100, s80                                  // 000000006024: 803C50FF 00000100
	s_cmp_lt_u32 s60, s81                                      // 00000000602C: BF0A513C
	s_cselect_b32 s83, s83, 0                                  // 000000006030: 85538053
	v_mfma_f32_16x16x32_fp8_fp8 v[80:83], a[70:71], a[54:55], v[80:83]// 000000006034: D3F30050 1D426D46
	s_add_u32 s24, s58, s24                                    // 00000000603C: 8018183A
	s_addc_u32 s25, 0, s25                                     // 000000006040: 82191980
	v_mfma_f32_16x16x32_fp8_fp8 v[84:87], a[64:65], a[56:57], v[84:87]// 000000006044: D3F30054 1D527140
	s_add_u32 s20, s57, s20                                    // 00000000604C: 80141439
	s_addc_u32 s21, 0, s21                                     // 000000006050: 82151580
	v_mfma_f32_16x16x32_fp8_fp8 v[84:87], a[66:67], a[58:59], v[84:87]// 000000006054: D3F30054 1D527542
	s_add_u32 s84, s83, s84                                    // 00000000605C: 80545453
	s_addc_u32 s85, 0, s85                                     // 000000006060: 82555580
	v_mfma_f32_16x16x32_fp8_fp8 v[84:87], a[68:69], a[60:61], v[84:87]// 000000006064: D3F30054 1D527944
	ds_read_b128 a[24:27], v2 offset:18176                     // 00000000606C: DBFE4700 18000002
	ds_read_b128 a[28:31], v2 offset:18240                     // 000000006074: DBFE4740 1C000002
	v_mfma_f32_16x16x32_fp8_fp8 v[84:87], a[70:71], a[62:63], v[84:87]// 00000000607C: D3F30054 1D527D46
	s_addk_i32 s80, 0x80                                       // 000000006084: B7500080
	s_cmp_lt_i32 s80, s81                                      // 000000006088: BF045150
	s_cbranch_scc0 label_0FE4                                  // 00000000608C: BF84023D
	s_waitcnt vmcnt(10) lgkmcnt(0)                             // 000000006090: BF8C007A
	v_mfma_f32_16x16x32_fp8_fp8 v[56:59], a[72:73], a[0:1], v[56:59]// 000000006094: D3F30038 1CE20148
	buffer_load_dwordx4 a[64:67], v54, s[24:27], 0 offen       // 00000000609C: E05C1000 80864036
	v_mfma_f32_16x16x32_fp8_fp8 v[56:59], a[74:75], a[2:3], v[56:59]// 0000000060A4: D3F30038 1CE2054A
	v_mfma_f32_16x16x32_fp8_fp8 v[56:59], a[76:77], a[4:5], v[56:59]// 0000000060AC: D3F30038 1CE2094C
	v_mfma_f32_16x16x32_fp8_fp8 v[56:59], a[78:79], a[6:7], v[56:59]// 0000000060B4: D3F30038 1CE20D4E
	v_mfma_f32_16x16x32_fp8_fp8 v[60:63], a[72:73], a[8:9], v[60:63]// 0000000060BC: D3F3003C 1CF21148
	buffer_load_dwordx4 a[68:71], v54, s[24:27], 0 offen offset:1024// 0000000060C4: E05C1400 80864436
	buffer_load_dword v46, s[20:23], 0 offen lds               // 0000000060CC: E0511000 8005002E
	s_add_u32 m0, 0x100, s49                                   // 0000000060D4: 807C31FF 00000100
	v_mfma_f32_16x16x32_fp8_fp8 v[60:63], a[74:75], a[10:11], v[60:63]// 0000000060DC: D3F3003C 1CF2154A
	v_mfma_f32_16x16x32_fp8_fp8 v[60:63], a[76:77], a[12:13], v[60:63]// 0000000060E4: D3F3003C 1CF2194C
	buffer_load_dword v47, s[20:23], 0 offen lds               // 0000000060EC: E0511000 8005002F
	s_add_u32 m0, 0x200, s49                                   // 0000000060F4: 807C31FF 00000200
	v_mfma_f32_16x16x32_fp8_fp8 v[60:63], a[78:79], a[14:15], v[60:63]// 0000000060FC: D3F3003C 1CF21D4E
	v_mfma_f32_16x16x32_fp8_fp8 v[64:67], a[72:73], a[16:17], v[64:67]// 000000006104: D3F30040 1D022148
	buffer_load_dword v48, s[20:23], 0 offen lds               // 00000000610C: E0511000 80050030
	s_add_u32 m0, 0x300, s49                                   // 000000006114: 807C31FF 00000300
	v_mfma_f32_16x16x32_fp8_fp8 v[64:67], a[74:75], a[18:19], v[64:67]// 00000000611C: D3F30040 1D02254A
	v_mfma_f32_16x16x32_fp8_fp8 v[64:67], a[76:77], a[20:21], v[64:67]// 000000006124: D3F30040 1D02294C
	buffer_load_dword v49, s[20:23], 0 offen lds               // 00000000612C: E0511000 80050031
	s_add_u32 m0, 0x400, s49                                   // 000000006134: 807C31FF 00000400
	v_mfma_f32_16x16x32_fp8_fp8 v[64:67], a[78:79], a[22:23], v[64:67]// 00000000613C: D3F30040 1D022D4E
	v_mfma_f32_16x16x32_fp8_fp8 v[68:71], a[72:73], a[24:25], v[68:71]// 000000006144: D3F30044 1D123148
	buffer_load_dword v50, s[20:23], 0 offen lds               // 00000000614C: E0511000 80050032
	s_add_u32 m0, 0x500, s49                                   // 000000006154: 807C31FF 00000500
	v_mfma_f32_16x16x32_fp8_fp8 v[68:71], a[74:75], a[26:27], v[68:71]// 00000000615C: D3F30044 1D12354A
	v_mfma_f32_16x16x32_fp8_fp8 v[68:71], a[76:77], a[28:29], v[68:71]// 000000006164: D3F30044 1D12394C
	buffer_load_dword v51, s[20:23], 0 offen lds               // 00000000616C: E0511000 80050033
	s_add_u32 m0, 0x600, s49                                   // 000000006174: 807C31FF 00000600
	v_mfma_f32_16x16x32_fp8_fp8 v[68:71], a[78:79], a[30:31], v[68:71]// 00000000617C: D3F30044 1D123D4E
	buffer_load_dword v52, s[20:23], 0 offen lds               // 000000006184: E0511000 80050034
	s_add_u32 m0, 0x700, s49                                   // 00000000618C: 807C31FF 00000700
	buffer_load_dword v53, s[20:23], 0 offen lds               // 000000006194: E0511000 80050035
	s_add_u32 m0, 0, s50                                       // 00000000619C: 807C3280
	s_waitcnt vmcnt(10)                                        // 0000000061A0: BF8C0F7A
	s_barrier                                                  // 0000000061A4: BF8A0000
	v_mfma_f32_16x16x32_fp8_fp8 v[72:75], a[80:81], a[0:1], v[72:75]// 0000000061A8: D3F30048 1D220150
	buffer_load_dwordx4 a[72:75], v54, s[84:87], 0 offen       // 0000000061B0: E05C1000 80954836
	v_mfma_f32_16x16x32_fp8_fp8 v[72:75], a[82:83], a[2:3], v[72:75]// 0000000061B8: D3F30048 1D220552
	v_mfma_f32_16x16x32_fp8_fp8 v[72:75], a[84:85], a[4:5], v[72:75]// 0000000061C0: D3F30048 1D220954
	ds_read_b128 a[32:35], v2                                  // 0000000061C8: DBFE0000 20000002
	ds_read_b128 a[36:39], v2 offset:64                        // 0000000061D0: DBFE0040 24000002
	v_mfma_f32_16x16x32_fp8_fp8 v[72:75], a[86:87], a[6:7], v[72:75]// 0000000061D8: D3F30048 1D220D56
	v_mfma_f32_16x16x32_fp8_fp8 v[76:79], a[80:81], a[8:9], v[76:79]// 0000000061E0: D3F3004C 1D321150
	buffer_load_dwordx4 a[76:79], v54, s[84:87], 0 offen offset:1024// 0000000061E8: E05C1400 80954C36
	v_mfma_f32_16x16x32_fp8_fp8 v[76:79], a[82:83], a[10:11], v[76:79]// 0000000061F0: D3F3004C 1D321552
	v_mfma_f32_16x16x32_fp8_fp8 v[76:79], a[84:85], a[12:13], v[76:79]// 0000000061F8: D3F3004C 1D321954
	ds_read_b128 a[40:43], v2 offset:512                       // 000000006200: DBFE0200 28000002
	ds_read_b128 a[44:47], v2 offset:576                       // 000000006208: DBFE0240 2C000002
	v_mfma_f32_16x16x32_fp8_fp8 v[76:79], a[86:87], a[14:15], v[76:79]// 000000006210: D3F3004C 1D321D56
	v_mfma_f32_16x16x32_fp8_fp8 v[80:83], a[80:81], a[16:17], v[80:83]// 000000006218: D3F30050 1D422150
	s_add_u32 s60, 0x180, s80                                  // 000000006220: 803C50FF 00000180
	s_cmp_lt_u32 s60, s81                                      // 000000006228: BF0A513C
	s_cselect_b32 s57, s57, 0                                  // 00000000622C: 85398039
	v_mfma_f32_16x16x32_fp8_fp8 v[80:83], a[82:83], a[18:19], v[80:83]// 000000006230: D3F30050 1D422552
	s_add_u32 s60, 0x100, s80                                  // 000000006238: 803C50FF 00000100
	s_cmp_lt_u32 s60, s81                                      // 000000006240: BF0A513C
	s_cselect_b32 s58, s58, 0                                  // 000000006244: 853A803A
	v_mfma_f32_16x16x32_fp8_fp8 v[80:83], a[84:85], a[20:21], v[80:83]// 000000006248: D3F30050 1D422954
	ds_read_b128 a[48:51], v2 offset:1024                      // 000000006250: DBFE0400 30000002
	ds_read_b128 a[52:55], v2 offset:1088                      // 000000006258: DBFE0440 34000002
	s_add_u32 s60, 0x100, s80                                  // 000000006260: 803C50FF 00000100
	s_cmp_lt_u32 s60, s81                                      // 000000006268: BF0A513C
	s_cselect_b32 s83, s83, 0                                  // 00000000626C: 85538053
	v_mfma_f32_16x16x32_fp8_fp8 v[80:83], a[86:87], a[22:23], v[80:83]// 000000006270: D3F30050 1D422D56
	s_add_u32 s24, s58, s24                                    // 000000006278: 8018183A
	s_addc_u32 s25, 0, s25                                     // 00000000627C: 82191980
	v_mfma_f32_16x16x32_fp8_fp8 v[84:87], a[80:81], a[24:25], v[84:87]// 000000006280: D3F30054 1D523150
	s_add_u32 s20, s57, s20                                    // 000000006288: 80141439
	s_addc_u32 s21, 0, s21                                     // 00000000628C: 82151580
	v_mfma_f32_16x16x32_fp8_fp8 v[84:87], a[82:83], a[26:27], v[84:87]// 000000006290: D3F30054 1D523552
	s_add_u32 s84, s83, s84                                    // 000000006298: 80545453
	s_addc_u32 s85, 0, s85                                     // 00000000629C: 82555580
	v_mfma_f32_16x16x32_fp8_fp8 v[84:87], a[84:85], a[28:29], v[84:87]// 0000000062A0: D3F30054 1D523954
	ds_read_b128 a[56:59], v2 offset:1536                      // 0000000062A8: DBFE0600 38000002
	ds_read_b128 a[60:63], v2 offset:1600                      // 0000000062B0: DBFE0640 3C000002
	v_mfma_f32_16x16x32_fp8_fp8 v[84:87], a[86:87], a[30:31], v[84:87]// 0000000062B8: D3F30054 1D523D56
	s_addk_i32 s80, 0x80                                       // 0000000062C0: B7500080
	s_cmp_lt_i32 s80, s81                                      // 0000000062C4: BF045150
	s_cbranch_scc0 label_0FE4                                  // 0000000062C8: BF8401AE
	s_waitcnt vmcnt(10) lgkmcnt(0)                             // 0000000062CC: BF8C007A
	v_mfma_f32_16x16x32_fp8_fp8 v[56:59], a[64:65], a[32:33], v[56:59]// 0000000062D0: D3F30038 1CE24140
	buffer_load_dwordx4 a[80:83], v54, s[24:27], 0 offen       // 0000000062D8: E05C1000 80865036
	v_mfma_f32_16x16x32_fp8_fp8 v[56:59], a[66:67], a[34:35], v[56:59]// 0000000062E0: D3F30038 1CE24542
	v_mfma_f32_16x16x32_fp8_fp8 v[56:59], a[68:69], a[36:37], v[56:59]// 0000000062E8: D3F30038 1CE24944
	v_mfma_f32_16x16x32_fp8_fp8 v[56:59], a[70:71], a[38:39], v[56:59]// 0000000062F0: D3F30038 1CE24D46
	v_mfma_f32_16x16x32_fp8_fp8 v[60:63], a[64:65], a[40:41], v[60:63]// 0000000062F8: D3F3003C 1CF25140
	buffer_load_dwordx4 a[84:87], v54, s[24:27], 0 offen offset:1024// 000000006300: E05C1400 80865436
	buffer_load_dword v46, s[20:23], 0 offen lds               // 000000006308: E0511000 8005002E
	s_add_u32 m0, 0x100, s50                                   // 000000006310: 807C32FF 00000100
	v_mfma_f32_16x16x32_fp8_fp8 v[60:63], a[66:67], a[42:43], v[60:63]// 000000006318: D3F3003C 1CF25542
	v_mfma_f32_16x16x32_fp8_fp8 v[60:63], a[68:69], a[44:45], v[60:63]// 000000006320: D3F3003C 1CF25944
	buffer_load_dword v47, s[20:23], 0 offen lds               // 000000006328: E0511000 8005002F
	s_add_u32 m0, 0x200, s50                                   // 000000006330: 807C32FF 00000200
	v_mfma_f32_16x16x32_fp8_fp8 v[60:63], a[70:71], a[46:47], v[60:63]// 000000006338: D3F3003C 1CF25D46
	v_mfma_f32_16x16x32_fp8_fp8 v[64:67], a[64:65], a[48:49], v[64:67]// 000000006340: D3F30040 1D026140
	buffer_load_dword v48, s[20:23], 0 offen lds               // 000000006348: E0511000 80050030
	s_add_u32 m0, 0x300, s50                                   // 000000006350: 807C32FF 00000300
	v_mfma_f32_16x16x32_fp8_fp8 v[64:67], a[66:67], a[50:51], v[64:67]// 000000006358: D3F30040 1D026542
	v_mfma_f32_16x16x32_fp8_fp8 v[64:67], a[68:69], a[52:53], v[64:67]// 000000006360: D3F30040 1D026944
	buffer_load_dword v49, s[20:23], 0 offen lds               // 000000006368: E0511000 80050031
	s_add_u32 m0, 0x400, s50                                   // 000000006370: 807C32FF 00000400
	v_mfma_f32_16x16x32_fp8_fp8 v[64:67], a[70:71], a[54:55], v[64:67]// 000000006378: D3F30040 1D026D46
	v_mfma_f32_16x16x32_fp8_fp8 v[68:71], a[64:65], a[56:57], v[68:71]// 000000006380: D3F30044 1D127140
	buffer_load_dword v50, s[20:23], 0 offen lds               // 000000006388: E0511000 80050032
	s_add_u32 m0, 0x500, s50                                   // 000000006390: 807C32FF 00000500
	v_mfma_f32_16x16x32_fp8_fp8 v[68:71], a[66:67], a[58:59], v[68:71]// 000000006398: D3F30044 1D127542
	v_mfma_f32_16x16x32_fp8_fp8 v[68:71], a[68:69], a[60:61], v[68:71]// 0000000063A0: D3F30044 1D127944
	buffer_load_dword v51, s[20:23], 0 offen lds               // 0000000063A8: E0511000 80050033
	s_add_u32 m0, 0x600, s50                                   // 0000000063B0: 807C32FF 00000600
	v_mfma_f32_16x16x32_fp8_fp8 v[68:71], a[70:71], a[62:63], v[68:71]// 0000000063B8: D3F30044 1D127D46
	buffer_load_dword v52, s[20:23], 0 offen lds               // 0000000063C0: E0511000 80050034
	s_add_u32 m0, 0x700, s50                                   // 0000000063C8: 807C32FF 00000700
	buffer_load_dword v53, s[20:23], 0 offen lds               // 0000000063D0: E0511000 80050035
	s_add_u32 m0, 0, s48                                       // 0000000063D8: 807C3080
	s_waitcnt vmcnt(10)                                        // 0000000063DC: BF8C0F7A
	s_barrier                                                  // 0000000063E0: BF8A0000
	v_mfma_f32_16x16x32_fp8_fp8 v[72:75], a[72:73], a[32:33], v[72:75]// 0000000063E4: D3F30048 1D224148
	buffer_load_dwordx4 a[64:67], v54, s[84:87], 0 offen       // 0000000063EC: E05C1000 80954036
	v_mfma_f32_16x16x32_fp8_fp8 v[72:75], a[74:75], a[34:35], v[72:75]// 0000000063F4: D3F30048 1D22454A
	v_mfma_f32_16x16x32_fp8_fp8 v[72:75], a[76:77], a[36:37], v[72:75]// 0000000063FC: D3F30048 1D22494C
	ds_read_b128 a[0:3], v2 offset:8320                        // 000000006404: DBFE2080 00000002
	ds_read_b128 a[4:7], v2 offset:8384                        // 00000000640C: DBFE20C0 04000002
	v_mfma_f32_16x16x32_fp8_fp8 v[72:75], a[78:79], a[38:39], v[72:75]// 000000006414: D3F30048 1D224D4E
	v_mfma_f32_16x16x32_fp8_fp8 v[76:79], a[72:73], a[40:41], v[76:79]// 00000000641C: D3F3004C 1D325148
	buffer_load_dwordx4 a[68:71], v54, s[84:87], 0 offen offset:1024// 000000006424: E05C1400 80954436
	v_mfma_f32_16x16x32_fp8_fp8 v[76:79], a[74:75], a[42:43], v[76:79]// 00000000642C: D3F3004C 1D32554A
	v_mfma_f32_16x16x32_fp8_fp8 v[76:79], a[76:77], a[44:45], v[76:79]// 000000006434: D3F3004C 1D32594C
	ds_read_b128 a[8:11], v2 offset:8832                       // 00000000643C: DBFE2280 08000002
	ds_read_b128 a[12:15], v2 offset:8896                      // 000000006444: DBFE22C0 0C000002
	v_mfma_f32_16x16x32_fp8_fp8 v[76:79], a[78:79], a[46:47], v[76:79]// 00000000644C: D3F3004C 1D325D4E
	v_mfma_f32_16x16x32_fp8_fp8 v[80:83], a[72:73], a[48:49], v[80:83]// 000000006454: D3F30050 1D426148
	s_add_u32 s60, 0x180, s80                                  // 00000000645C: 803C50FF 00000180
	s_cmp_lt_u32 s60, s81                                      // 000000006464: BF0A513C
	s_cselect_b32 s57, s57, 0                                  // 000000006468: 85398039
	v_mfma_f32_16x16x32_fp8_fp8 v[80:83], a[74:75], a[50:51], v[80:83]// 00000000646C: D3F30050 1D42654A
	s_add_u32 s60, 0x100, s80                                  // 000000006474: 803C50FF 00000100
	s_cmp_lt_u32 s60, s81                                      // 00000000647C: BF0A513C
	s_cselect_b32 s58, s58, 0                                  // 000000006480: 853A803A
	v_mfma_f32_16x16x32_fp8_fp8 v[80:83], a[76:77], a[52:53], v[80:83]// 000000006484: D3F30050 1D42694C
	ds_read_b128 a[16:19], v2 offset:9344                      // 00000000648C: DBFE2480 10000002
	ds_read_b128 a[20:23], v2 offset:9408                      // 000000006494: DBFE24C0 14000002
	s_add_u32 s60, 0x100, s80                                  // 00000000649C: 803C50FF 00000100
	s_cmp_lt_u32 s60, s81                                      // 0000000064A4: BF0A513C
	s_cselect_b32 s83, s83, 0                                  // 0000000064A8: 85538053
	v_mfma_f32_16x16x32_fp8_fp8 v[80:83], a[78:79], a[54:55], v[80:83]// 0000000064AC: D3F30050 1D426D4E
	s_add_u32 s24, s58, s24                                    // 0000000064B4: 8018183A
	s_addc_u32 s25, 0, s25                                     // 0000000064B8: 82191980
	v_mfma_f32_16x16x32_fp8_fp8 v[84:87], a[72:73], a[56:57], v[84:87]// 0000000064BC: D3F30054 1D527148
	s_add_u32 s20, s57, s20                                    // 0000000064C4: 80141439
	s_addc_u32 s21, 0, s21                                     // 0000000064C8: 82151580
	v_mfma_f32_16x16x32_fp8_fp8 v[84:87], a[74:75], a[58:59], v[84:87]// 0000000064CC: D3F30054 1D52754A
	s_add_u32 s84, s83, s84                                    // 0000000064D4: 80545453
	s_addc_u32 s85, 0, s85                                     // 0000000064D8: 82555580
	v_mfma_f32_16x16x32_fp8_fp8 v[84:87], a[76:77], a[60:61], v[84:87]// 0000000064DC: D3F30054 1D52794C
	ds_read_b128 a[24:27], v2 offset:9856                      // 0000000064E4: DBFE2680 18000002
	ds_read_b128 a[28:31], v2 offset:9920                      // 0000000064EC: DBFE26C0 1C000002
	v_mfma_f32_16x16x32_fp8_fp8 v[84:87], a[78:79], a[62:63], v[84:87]// 0000000064F4: D3F30054 1D527D4E
	s_addk_i32 s80, 0x80                                       // 0000000064FC: B7500080
	s_cmp_lt_i32 s80, s81                                      // 000000006500: BF045150
	s_cbranch_scc0 label_0FE4                                  // 000000006504: BF84011F
	s_waitcnt vmcnt(10) lgkmcnt(0)                             // 000000006508: BF8C007A
	v_mfma_f32_16x16x32_fp8_fp8 v[56:59], a[80:81], a[0:1], v[56:59]// 00000000650C: D3F30038 1CE20150
	buffer_load_dwordx4 a[72:75], v54, s[24:27], 0 offen       // 000000006514: E05C1000 80864836
	v_mfma_f32_16x16x32_fp8_fp8 v[56:59], a[82:83], a[2:3], v[56:59]// 00000000651C: D3F30038 1CE20552
	v_mfma_f32_16x16x32_fp8_fp8 v[56:59], a[84:85], a[4:5], v[56:59]// 000000006524: D3F30038 1CE20954
	v_mfma_f32_16x16x32_fp8_fp8 v[56:59], a[86:87], a[6:7], v[56:59]// 00000000652C: D3F30038 1CE20D56
	v_mfma_f32_16x16x32_fp8_fp8 v[60:63], a[80:81], a[8:9], v[60:63]// 000000006534: D3F3003C 1CF21150
	buffer_load_dwordx4 a[76:79], v54, s[24:27], 0 offen offset:1024// 00000000653C: E05C1400 80864C36
	buffer_load_dword v46, s[20:23], 0 offen lds               // 000000006544: E0511000 8005002E
	s_add_u32 m0, 0x100, s48                                   // 00000000654C: 807C30FF 00000100
	v_mfma_f32_16x16x32_fp8_fp8 v[60:63], a[82:83], a[10:11], v[60:63]// 000000006554: D3F3003C 1CF21552
	v_mfma_f32_16x16x32_fp8_fp8 v[60:63], a[84:85], a[12:13], v[60:63]// 00000000655C: D3F3003C 1CF21954
	buffer_load_dword v47, s[20:23], 0 offen lds               // 000000006564: E0511000 8005002F
	s_add_u32 m0, 0x200, s48                                   // 00000000656C: 807C30FF 00000200
	v_mfma_f32_16x16x32_fp8_fp8 v[60:63], a[86:87], a[14:15], v[60:63]// 000000006574: D3F3003C 1CF21D56
	v_mfma_f32_16x16x32_fp8_fp8 v[64:67], a[80:81], a[16:17], v[64:67]// 00000000657C: D3F30040 1D022150
	buffer_load_dword v48, s[20:23], 0 offen lds               // 000000006584: E0511000 80050030
	s_add_u32 m0, 0x300, s48                                   // 00000000658C: 807C30FF 00000300
	v_mfma_f32_16x16x32_fp8_fp8 v[64:67], a[82:83], a[18:19], v[64:67]// 000000006594: D3F30040 1D022552
	v_mfma_f32_16x16x32_fp8_fp8 v[64:67], a[84:85], a[20:21], v[64:67]// 00000000659C: D3F30040 1D022954
	buffer_load_dword v49, s[20:23], 0 offen lds               // 0000000065A4: E0511000 80050031
	s_add_u32 m0, 0x400, s48                                   // 0000000065AC: 807C30FF 00000400
	v_mfma_f32_16x16x32_fp8_fp8 v[64:67], a[86:87], a[22:23], v[64:67]// 0000000065B4: D3F30040 1D022D56
	v_mfma_f32_16x16x32_fp8_fp8 v[68:71], a[80:81], a[24:25], v[68:71]// 0000000065BC: D3F30044 1D123150
	buffer_load_dword v50, s[20:23], 0 offen lds               // 0000000065C4: E0511000 80050032
	s_add_u32 m0, 0x500, s48                                   // 0000000065CC: 807C30FF 00000500
	v_mfma_f32_16x16x32_fp8_fp8 v[68:71], a[82:83], a[26:27], v[68:71]// 0000000065D4: D3F30044 1D123552
	v_mfma_f32_16x16x32_fp8_fp8 v[68:71], a[84:85], a[28:29], v[68:71]// 0000000065DC: D3F30044 1D123954
	buffer_load_dword v51, s[20:23], 0 offen lds               // 0000000065E4: E0511000 80050033
	s_add_u32 m0, 0x600, s48                                   // 0000000065EC: 807C30FF 00000600
	v_mfma_f32_16x16x32_fp8_fp8 v[68:71], a[86:87], a[30:31], v[68:71]// 0000000065F4: D3F30044 1D123D56
	buffer_load_dword v52, s[20:23], 0 offen lds               // 0000000065FC: E0511000 80050034
	s_add_u32 m0, 0x700, s48                                   // 000000006604: 807C30FF 00000700
	buffer_load_dword v53, s[20:23], 0 offen lds               // 00000000660C: E0511000 80050035
	s_add_u32 m0, 0, s49                                       // 000000006614: 807C3180
	s_waitcnt vmcnt(10)                                        // 000000006618: BF8C0F7A
	s_barrier                                                  // 00000000661C: BF8A0000
	v_mfma_f32_16x16x32_fp8_fp8 v[72:75], a[64:65], a[0:1], v[72:75]// 000000006620: D3F30048 1D220140
	buffer_load_dwordx4 a[80:83], v54, s[84:87], 0 offen       // 000000006628: E05C1000 80955036
	v_mfma_f32_16x16x32_fp8_fp8 v[72:75], a[66:67], a[2:3], v[72:75]// 000000006630: D3F30048 1D220542
	v_mfma_f32_16x16x32_fp8_fp8 v[72:75], a[68:69], a[4:5], v[72:75]// 000000006638: D3F30048 1D220944
	ds_read_b128 a[32:35], v2 offset:16640                     // 000000006640: DBFE4100 20000002
	ds_read_b128 a[36:39], v2 offset:16704                     // 000000006648: DBFE4140 24000002
	v_mfma_f32_16x16x32_fp8_fp8 v[72:75], a[70:71], a[6:7], v[72:75]// 000000006650: D3F30048 1D220D46
	v_mfma_f32_16x16x32_fp8_fp8 v[76:79], a[64:65], a[8:9], v[76:79]// 000000006658: D3F3004C 1D321140
	buffer_load_dwordx4 a[84:87], v54, s[84:87], 0 offen offset:1024// 000000006660: E05C1400 80955436
	v_mfma_f32_16x16x32_fp8_fp8 v[76:79], a[66:67], a[10:11], v[76:79]// 000000006668: D3F3004C 1D321542
	v_mfma_f32_16x16x32_fp8_fp8 v[76:79], a[68:69], a[12:13], v[76:79]// 000000006670: D3F3004C 1D321944
	ds_read_b128 a[40:43], v2 offset:17152                     // 000000006678: DBFE4300 28000002
	ds_read_b128 a[44:47], v2 offset:17216                     // 000000006680: DBFE4340 2C000002
	v_mfma_f32_16x16x32_fp8_fp8 v[76:79], a[70:71], a[14:15], v[76:79]// 000000006688: D3F3004C 1D321D46
	v_mfma_f32_16x16x32_fp8_fp8 v[80:83], a[64:65], a[16:17], v[80:83]// 000000006690: D3F30050 1D422140
	s_add_u32 s60, 0x180, s80                                  // 000000006698: 803C50FF 00000180
	s_cmp_lt_u32 s60, s81                                      // 0000000066A0: BF0A513C
	s_cselect_b32 s57, s57, 0                                  // 0000000066A4: 85398039
	v_mfma_f32_16x16x32_fp8_fp8 v[80:83], a[66:67], a[18:19], v[80:83]// 0000000066A8: D3F30050 1D422542
	s_add_u32 s60, 0x100, s80                                  // 0000000066B0: 803C50FF 00000100
	s_cmp_lt_u32 s60, s81                                      // 0000000066B8: BF0A513C
	s_cselect_b32 s58, s58, 0                                  // 0000000066BC: 853A803A
	v_mfma_f32_16x16x32_fp8_fp8 v[80:83], a[68:69], a[20:21], v[80:83]// 0000000066C0: D3F30050 1D422944
	ds_read_b128 a[48:51], v2 offset:17664                     // 0000000066C8: DBFE4500 30000002
	ds_read_b128 a[52:55], v2 offset:17728                     // 0000000066D0: DBFE4540 34000002
	s_add_u32 s60, 0x100, s80                                  // 0000000066D8: 803C50FF 00000100
	s_cmp_lt_u32 s60, s81                                      // 0000000066E0: BF0A513C
	s_cselect_b32 s83, s83, 0                                  // 0000000066E4: 85538053
	v_mfma_f32_16x16x32_fp8_fp8 v[80:83], a[70:71], a[22:23], v[80:83]// 0000000066E8: D3F30050 1D422D46
	s_add_u32 s24, s58, s24                                    // 0000000066F0: 8018183A
	s_addc_u32 s25, 0, s25                                     // 0000000066F4: 82191980
	v_mfma_f32_16x16x32_fp8_fp8 v[84:87], a[64:65], a[24:25], v[84:87]// 0000000066F8: D3F30054 1D523140
	s_add_u32 s20, s57, s20                                    // 000000006700: 80141439
	s_addc_u32 s21, 0, s21                                     // 000000006704: 82151580
	v_mfma_f32_16x16x32_fp8_fp8 v[84:87], a[66:67], a[26:27], v[84:87]// 000000006708: D3F30054 1D523542
	s_add_u32 s84, s83, s84                                    // 000000006710: 80545453
	s_addc_u32 s85, 0, s85                                     // 000000006714: 82555580
	v_mfma_f32_16x16x32_fp8_fp8 v[84:87], a[68:69], a[28:29], v[84:87]// 000000006718: D3F30054 1D523944
	ds_read_b128 a[56:59], v2 offset:18176                     // 000000006720: DBFE4700 38000002
	ds_read_b128 a[60:63], v2 offset:18240                     // 000000006728: DBFE4740 3C000002
	v_mfma_f32_16x16x32_fp8_fp8 v[84:87], a[70:71], a[30:31], v[84:87]// 000000006730: D3F30054 1D523D46
	s_addk_i32 s80, 0x80                                       // 000000006738: B7500080
	s_cmp_lt_i32 s80, s81                                      // 00000000673C: BF045150
	s_cbranch_scc0 label_0FE4                                  // 000000006740: BF840090
	s_waitcnt vmcnt(10) lgkmcnt(0)                             // 000000006744: BF8C007A
	v_mfma_f32_16x16x32_fp8_fp8 v[56:59], a[72:73], a[32:33], v[56:59]// 000000006748: D3F30038 1CE24148
	buffer_load_dwordx4 a[64:67], v54, s[24:27], 0 offen       // 000000006750: E05C1000 80864036
	v_mfma_f32_16x16x32_fp8_fp8 v[56:59], a[74:75], a[34:35], v[56:59]// 000000006758: D3F30038 1CE2454A
	v_mfma_f32_16x16x32_fp8_fp8 v[56:59], a[76:77], a[36:37], v[56:59]// 000000006760: D3F30038 1CE2494C
	v_mfma_f32_16x16x32_fp8_fp8 v[56:59], a[78:79], a[38:39], v[56:59]// 000000006768: D3F30038 1CE24D4E
	v_mfma_f32_16x16x32_fp8_fp8 v[60:63], a[72:73], a[40:41], v[60:63]// 000000006770: D3F3003C 1CF25148
	buffer_load_dwordx4 a[68:71], v54, s[24:27], 0 offen offset:1024// 000000006778: E05C1400 80864436
	buffer_load_dword v46, s[20:23], 0 offen lds               // 000000006780: E0511000 8005002E
	s_add_u32 m0, 0x100, s49                                   // 000000006788: 807C31FF 00000100
	v_mfma_f32_16x16x32_fp8_fp8 v[60:63], a[74:75], a[42:43], v[60:63]// 000000006790: D3F3003C 1CF2554A
	v_mfma_f32_16x16x32_fp8_fp8 v[60:63], a[76:77], a[44:45], v[60:63]// 000000006798: D3F3003C 1CF2594C
	buffer_load_dword v47, s[20:23], 0 offen lds               // 0000000067A0: E0511000 8005002F
	s_add_u32 m0, 0x200, s49                                   // 0000000067A8: 807C31FF 00000200
	v_mfma_f32_16x16x32_fp8_fp8 v[60:63], a[78:79], a[46:47], v[60:63]// 0000000067B0: D3F3003C 1CF25D4E
	v_mfma_f32_16x16x32_fp8_fp8 v[64:67], a[72:73], a[48:49], v[64:67]// 0000000067B8: D3F30040 1D026148
	buffer_load_dword v48, s[20:23], 0 offen lds               // 0000000067C0: E0511000 80050030
	s_add_u32 m0, 0x300, s49                                   // 0000000067C8: 807C31FF 00000300
	v_mfma_f32_16x16x32_fp8_fp8 v[64:67], a[74:75], a[50:51], v[64:67]// 0000000067D0: D3F30040 1D02654A
	v_mfma_f32_16x16x32_fp8_fp8 v[64:67], a[76:77], a[52:53], v[64:67]// 0000000067D8: D3F30040 1D02694C
	buffer_load_dword v49, s[20:23], 0 offen lds               // 0000000067E0: E0511000 80050031
	s_add_u32 m0, 0x400, s49                                   // 0000000067E8: 807C31FF 00000400
	v_mfma_f32_16x16x32_fp8_fp8 v[64:67], a[78:79], a[54:55], v[64:67]// 0000000067F0: D3F30040 1D026D4E
	v_mfma_f32_16x16x32_fp8_fp8 v[68:71], a[72:73], a[56:57], v[68:71]// 0000000067F8: D3F30044 1D127148
	buffer_load_dword v50, s[20:23], 0 offen lds               // 000000006800: E0511000 80050032
	s_add_u32 m0, 0x500, s49                                   // 000000006808: 807C31FF 00000500
	v_mfma_f32_16x16x32_fp8_fp8 v[68:71], a[74:75], a[58:59], v[68:71]// 000000006810: D3F30044 1D12754A
	v_mfma_f32_16x16x32_fp8_fp8 v[68:71], a[76:77], a[60:61], v[68:71]// 000000006818: D3F30044 1D12794C
	buffer_load_dword v51, s[20:23], 0 offen lds               // 000000006820: E0511000 80050033
	s_add_u32 m0, 0x600, s49                                   // 000000006828: 807C31FF 00000600
	v_mfma_f32_16x16x32_fp8_fp8 v[68:71], a[78:79], a[62:63], v[68:71]// 000000006830: D3F30044 1D127D4E
	buffer_load_dword v52, s[20:23], 0 offen lds               // 000000006838: E0511000 80050034
	s_add_u32 m0, 0x700, s49                                   // 000000006840: 807C31FF 00000700
	buffer_load_dword v53, s[20:23], 0 offen lds               // 000000006848: E0511000 80050035
	s_add_u32 m0, 0, s50                                       // 000000006850: 807C3280
	s_waitcnt vmcnt(10)                                        // 000000006854: BF8C0F7A
	s_barrier                                                  // 000000006858: BF8A0000
	v_mfma_f32_16x16x32_fp8_fp8 v[72:75], a[80:81], a[32:33], v[72:75]// 00000000685C: D3F30048 1D224150
	buffer_load_dwordx4 a[72:75], v54, s[84:87], 0 offen       // 000000006864: E05C1000 80954836
	v_mfma_f32_16x16x32_fp8_fp8 v[72:75], a[82:83], a[34:35], v[72:75]// 00000000686C: D3F30048 1D224552
	v_mfma_f32_16x16x32_fp8_fp8 v[72:75], a[84:85], a[36:37], v[72:75]// 000000006874: D3F30048 1D224954
	ds_read_b128 a[0:3], v2                                    // 00000000687C: DBFE0000 00000002
	ds_read_b128 a[4:7], v2 offset:64                          // 000000006884: DBFE0040 04000002
	v_mfma_f32_16x16x32_fp8_fp8 v[72:75], a[86:87], a[38:39], v[72:75]// 00000000688C: D3F30048 1D224D56
	v_mfma_f32_16x16x32_fp8_fp8 v[76:79], a[80:81], a[40:41], v[76:79]// 000000006894: D3F3004C 1D325150
	buffer_load_dwordx4 a[76:79], v54, s[84:87], 0 offen offset:1024// 00000000689C: E05C1400 80954C36
	v_mfma_f32_16x16x32_fp8_fp8 v[76:79], a[82:83], a[42:43], v[76:79]// 0000000068A4: D3F3004C 1D325552
	v_mfma_f32_16x16x32_fp8_fp8 v[76:79], a[84:85], a[44:45], v[76:79]// 0000000068AC: D3F3004C 1D325954
	ds_read_b128 a[8:11], v2 offset:512                        // 0000000068B4: DBFE0200 08000002
	ds_read_b128 a[12:15], v2 offset:576                       // 0000000068BC: DBFE0240 0C000002
	v_mfma_f32_16x16x32_fp8_fp8 v[76:79], a[86:87], a[46:47], v[76:79]// 0000000068C4: D3F3004C 1D325D56
	v_mfma_f32_16x16x32_fp8_fp8 v[80:83], a[80:81], a[48:49], v[80:83]// 0000000068CC: D3F30050 1D426150
	s_add_u32 s60, 0x180, s80                                  // 0000000068D4: 803C50FF 00000180
	s_cmp_lt_u32 s60, s81                                      // 0000000068DC: BF0A513C
	s_cselect_b32 s57, s57, 0                                  // 0000000068E0: 85398039
	v_mfma_f32_16x16x32_fp8_fp8 v[80:83], a[82:83], a[50:51], v[80:83]// 0000000068E4: D3F30050 1D426552
	s_add_u32 s60, 0x100, s80                                  // 0000000068EC: 803C50FF 00000100
	s_cmp_lt_u32 s60, s81                                      // 0000000068F4: BF0A513C
	s_cselect_b32 s58, s58, 0                                  // 0000000068F8: 853A803A
	v_mfma_f32_16x16x32_fp8_fp8 v[80:83], a[84:85], a[52:53], v[80:83]// 0000000068FC: D3F30050 1D426954
	ds_read_b128 a[16:19], v2 offset:1024                      // 000000006904: DBFE0400 10000002
	ds_read_b128 a[20:23], v2 offset:1088                      // 00000000690C: DBFE0440 14000002
	s_add_u32 s60, 0x100, s80                                  // 000000006914: 803C50FF 00000100
	s_cmp_lt_u32 s60, s81                                      // 00000000691C: BF0A513C
	s_cselect_b32 s83, s83, 0                                  // 000000006920: 85538053
	v_mfma_f32_16x16x32_fp8_fp8 v[80:83], a[86:87], a[54:55], v[80:83]// 000000006924: D3F30050 1D426D56
	s_add_u32 s24, s58, s24                                    // 00000000692C: 8018183A
	s_addc_u32 s25, 0, s25                                     // 000000006930: 82191980
	v_mfma_f32_16x16x32_fp8_fp8 v[84:87], a[80:81], a[56:57], v[84:87]// 000000006934: D3F30054 1D527150
	s_add_u32 s20, s57, s20                                    // 00000000693C: 80141439
	s_addc_u32 s21, 0, s21                                     // 000000006940: 82151580
	v_mfma_f32_16x16x32_fp8_fp8 v[84:87], a[82:83], a[58:59], v[84:87]// 000000006944: D3F30054 1D527552
	s_add_u32 s84, s83, s84                                    // 00000000694C: 80545453
	s_addc_u32 s85, 0, s85                                     // 000000006950: 82555580
	v_mfma_f32_16x16x32_fp8_fp8 v[84:87], a[84:85], a[60:61], v[84:87]// 000000006954: D3F30054 1D527954
	ds_read_b128 a[24:27], v2 offset:1536                      // 00000000695C: DBFE0600 18000002
	ds_read_b128 a[28:31], v2 offset:1600                      // 000000006964: DBFE0640 1C000002
	v_mfma_f32_16x16x32_fp8_fp8 v[84:87], a[86:87], a[62:63], v[84:87]// 00000000696C: D3F30054 1D527D56
	s_addk_i32 s80, 0x80                                       // 000000006974: B7500080
	s_cmp_lt_i32 s80, s81                                      // 000000006978: BF045150
	s_cbranch_scc0 label_0FE4                                  // 00000000697C: BF840001
	s_branch label_0C89                                        // 000000006980: BF82FCA5

0000000000006984 <label_0FE4>:
	v_mul_f32_dpp v56, v24, v56 row_newbcast:0 row_mask:0xf bank_mask:0xf// 000000006984: 0A7070FA FF015018
	v_mul_f32_dpp v57, v24, v57 row_newbcast:1 row_mask:0xf bank_mask:0xf// 00000000698C: 0A7272FA FF015118
	v_mul_f32_dpp v58, v24, v58 row_newbcast:2 row_mask:0xf bank_mask:0xf// 000000006994: 0A7474FA FF015218
	v_mul_f32_dpp v59, v24, v59 row_newbcast:3 row_mask:0xf bank_mask:0xf// 00000000699C: 0A7676FA FF015318
	v_mul_f32_dpp v60, v24, v60 row_newbcast:0 row_mask:0xf bank_mask:0xf// 0000000069A4: 0A7878FA FF015018
	v_mul_f32_dpp v61, v24, v61 row_newbcast:1 row_mask:0xf bank_mask:0xf// 0000000069AC: 0A7A7AFA FF015118
	v_mul_f32_dpp v62, v24, v62 row_newbcast:2 row_mask:0xf bank_mask:0xf// 0000000069B4: 0A7C7CFA FF015218
	v_mul_f32_dpp v63, v24, v63 row_newbcast:3 row_mask:0xf bank_mask:0xf// 0000000069BC: 0A7E7EFA FF015318
	v_mul_f32_dpp v64, v24, v64 row_newbcast:0 row_mask:0xf bank_mask:0xf// 0000000069C4: 0A8080FA FF015018
	v_mul_f32_dpp v65, v24, v65 row_newbcast:1 row_mask:0xf bank_mask:0xf// 0000000069CC: 0A8282FA FF015118
	v_mul_f32_dpp v66, v24, v66 row_newbcast:2 row_mask:0xf bank_mask:0xf// 0000000069D4: 0A8484FA FF015218
	v_mul_f32_dpp v67, v24, v67 row_newbcast:3 row_mask:0xf bank_mask:0xf// 0000000069DC: 0A8686FA FF015318
	v_mul_f32_dpp v68, v24, v68 row_newbcast:0 row_mask:0xf bank_mask:0xf// 0000000069E4: 0A8888FA FF015018
	v_mul_f32_dpp v69, v24, v69 row_newbcast:1 row_mask:0xf bank_mask:0xf// 0000000069EC: 0A8A8AFA FF015118
	v_mul_f32_dpp v70, v24, v70 row_newbcast:2 row_mask:0xf bank_mask:0xf// 0000000069F4: 0A8C8CFA FF015218
	v_mul_f32_dpp v71, v24, v71 row_newbcast:3 row_mask:0xf bank_mask:0xf// 0000000069FC: 0A8E8EFA FF015318
	v_mul_f32_dpp v72, v27, v72 row_newbcast:0 row_mask:0xf bank_mask:0xf// 000000006A04: 0A9090FA FF01501B
	v_mul_f32_dpp v73, v27, v73 row_newbcast:1 row_mask:0xf bank_mask:0xf// 000000006A0C: 0A9292FA FF01511B
	v_mul_f32_dpp v74, v27, v74 row_newbcast:2 row_mask:0xf bank_mask:0xf// 000000006A14: 0A9494FA FF01521B
	v_mul_f32_dpp v75, v27, v75 row_newbcast:3 row_mask:0xf bank_mask:0xf// 000000006A1C: 0A9696FA FF01531B
	v_mul_f32_dpp v76, v27, v76 row_newbcast:0 row_mask:0xf bank_mask:0xf// 000000006A24: 0A9898FA FF01501B
	v_mul_f32_dpp v77, v27, v77 row_newbcast:1 row_mask:0xf bank_mask:0xf// 000000006A2C: 0A9A9AFA FF01511B
	v_mul_f32_dpp v78, v27, v78 row_newbcast:2 row_mask:0xf bank_mask:0xf// 000000006A34: 0A9C9CFA FF01521B
	v_mul_f32_dpp v79, v27, v79 row_newbcast:3 row_mask:0xf bank_mask:0xf// 000000006A3C: 0A9E9EFA FF01531B
	v_mul_f32_dpp v80, v27, v80 row_newbcast:0 row_mask:0xf bank_mask:0xf// 000000006A44: 0AA0A0FA FF01501B
	v_mul_f32_dpp v81, v27, v81 row_newbcast:1 row_mask:0xf bank_mask:0xf// 000000006A4C: 0AA2A2FA FF01511B
	v_mul_f32_dpp v82, v27, v82 row_newbcast:2 row_mask:0xf bank_mask:0xf// 000000006A54: 0AA4A4FA FF01521B
	v_mul_f32_dpp v83, v27, v83 row_newbcast:3 row_mask:0xf bank_mask:0xf// 000000006A5C: 0AA6A6FA FF01531B
	v_mul_f32_dpp v84, v27, v84 row_newbcast:0 row_mask:0xf bank_mask:0xf// 000000006A64: 0AA8A8FA FF01501B
	v_mul_f32_dpp v85, v27, v85 row_newbcast:1 row_mask:0xf bank_mask:0xf// 000000006A6C: 0AAAAAFA FF01511B
	v_mul_f32_dpp v86, v27, v86 row_newbcast:2 row_mask:0xf bank_mask:0xf// 000000006A74: 0AACACFA FF01521B
	v_mul_f32_dpp v87, v27, v87 row_newbcast:3 row_mask:0xf bank_mask:0xf// 000000006A7C: 0AAEAEFA FF01531B
	v_mov_b32_e32 v4, v34                                      // 000000006A84: 7E080322
	v_mov_b32_e32 v5, v4                                       // 000000006A88: 7E0A0304
	v_pk_mul_f32 v[56:57], v[4:5], v[56:57]                    // 000000006A8C: D3B14038 18027104
	v_pk_mul_f32 v[72:73], v[4:5], v[72:73]                    // 000000006A94: D3B14048 18029104
	v_pk_mul_f32 v[58:59], v[4:5], v[58:59]                    // 000000006A9C: D3B1403A 18027504
	v_pk_mul_f32 v[74:75], v[4:5], v[74:75]                    // 000000006AA4: D3B1404A 18029504
	v_mov_b32_e32 v4, v35                                      // 000000006AAC: 7E080323
	v_mov_b32_e32 v5, v4                                       // 000000006AB0: 7E0A0304
	v_pk_mul_f32 v[60:61], v[4:5], v[60:61]                    // 000000006AB4: D3B1403C 18027904
	v_pk_mul_f32 v[76:77], v[4:5], v[76:77]                    // 000000006ABC: D3B1404C 18029904
	v_pk_mul_f32 v[62:63], v[4:5], v[62:63]                    // 000000006AC4: D3B1403E 18027D04
	v_pk_mul_f32 v[78:79], v[4:5], v[78:79]                    // 000000006ACC: D3B1404E 18029D04
	v_mov_b32_e32 v4, v36                                      // 000000006AD4: 7E080324
	v_mov_b32_e32 v5, v4                                       // 000000006AD8: 7E0A0304
	v_pk_mul_f32 v[64:65], v[4:5], v[64:65]                    // 000000006ADC: D3B14040 18028104
	v_pk_mul_f32 v[80:81], v[4:5], v[80:81]                    // 000000006AE4: D3B14050 1802A104
	v_pk_mul_f32 v[66:67], v[4:5], v[66:67]                    // 000000006AEC: D3B14042 18028504
	v_pk_mul_f32 v[82:83], v[4:5], v[82:83]                    // 000000006AF4: D3B14052 1802A504
	v_mov_b32_e32 v4, v37                                      // 000000006AFC: 7E080325
	v_mov_b32_e32 v5, v4                                       // 000000006B00: 7E0A0304
	v_pk_mul_f32 v[68:69], v[4:5], v[68:69]                    // 000000006B04: D3B14044 18028904
	v_pk_mul_f32 v[84:85], v[4:5], v[84:85]                    // 000000006B0C: D3B14054 1802A904
	v_pk_mul_f32 v[70:71], v[4:5], v[70:71]                    // 000000006B14: D3B14046 18028D04
	v_pk_mul_f32 v[86:87], v[4:5], v[86:87]                    // 000000006B1C: D3B14056 1802AD04
	s_cmp_eq_u32 s88, 0                                        // 000000006B24: BF068058
	s_cbranch_scc0 label_1357                                  // 000000006B28: BF840309
	s_cmp_eq_u32 s89, 0                                        // 000000006B2C: BF068059
	s_cbranch_scc1 label_10F5                                  // 000000006B30: BF8500A5
	v_mov_b32_e32 v8, v1                                       // 000000006B34: 7E100301
	v_mov_b32_e32 v9, v1                                       // 000000006B38: 7E120301
	s_mov_b32 s60, s6                                          // 000000006B3C: BEBC0006
	s_mov_b32 s61, s6                                          // 000000006B40: BEBD0006
	v_pk_mul_f32 v[4:5], v[56:57], v[56:57]                    // 000000006B44: D3B14004 18027138
	v_pk_mul_f32 v[6:7], v[58:59], v[58:59]                    // 000000006B4C: D3B14006 1802753A
	v_pk_fma_f32 v[4:5], v[4:5], s[78:79], v[8:9]              // 000000006B54: D3B04004 1C209D04
	v_pk_fma_f32 v[6:7], v[6:7], s[78:79], v[8:9]              // 000000006B5C: D3B04006 1C209D06
	v_pk_mul_f32 v[4:5], v[4:5], v[56:57]                      // 000000006B64: D3B14004 18027104
	v_pk_mul_f32 v[6:7], v[6:7], v[58:59]                      // 000000006B6C: D3B14006 18027506
	v_pk_mul_f32 v[4:5], v[4:5], s[60:61]                      // 000000006B74: D3B14004 18007904
	v_pk_mul_f32 v[6:7], v[6:7], s[60:61]                      // 000000006B7C: D3B14006 18007906
	v_exp_f32_e32 v4, v4                                       // 000000006B84: 7E084104
	v_exp_f32_e32 v5, v5                                       // 000000006B88: 7E0A4105
	v_exp_f32_e32 v6, v6                                       // 000000006B8C: 7E0C4106
	v_exp_f32_e32 v7, v7                                       // 000000006B90: 7E0E4107
	v_add_f32_e64 v4, v4, 1.0                                  // 000000006B94: D1010004 0001E504
	v_add_f32_e64 v5, v5, 1.0                                  // 000000006B9C: D1010005 0001E505
	v_add_f32_e64 v6, v6, 1.0                                  // 000000006BA4: D1010006 0001E506
	v_add_f32_e64 v7, v7, 1.0                                  // 000000006BAC: D1010007 0001E507
	v_rcp_f32_e32 v4, v4                                       // 000000006BB4: 7E084504
	v_rcp_f32_e32 v5, v5                                       // 000000006BB8: 7E0A4505
	v_rcp_f32_e32 v6, v6                                       // 000000006BBC: 7E0C4506
	v_rcp_f32_e32 v7, v7                                       // 000000006BC0: 7E0E4507
	v_mul_f32_e32 v56, v56, v4                                 // 000000006BC4: 0A700938
	v_mul_f32_e32 v57, v57, v5                                 // 000000006BC8: 0A720B39
	v_mul_f32_e32 v58, v58, v6                                 // 000000006BCC: 0A740D3A
	v_mul_f32_e32 v59, v59, v7                                 // 000000006BD0: 0A760F3B
	v_mul_f32_e32 v56, v56, v72                                // 000000006BD4: 0A709138
	v_mul_f32_e32 v57, v57, v73                                // 000000006BD8: 0A729339
	v_mul_f32_e32 v58, v58, v74                                // 000000006BDC: 0A74953A
	v_mul_f32_e32 v59, v59, v75                                // 000000006BE0: 0A76973B
	v_pk_mul_f32 v[4:5], v[60:61], v[60:61]                    // 000000006BE4: D3B14004 1802793C
	v_pk_mul_f32 v[6:7], v[62:63], v[62:63]                    // 000000006BEC: D3B14006 18027D3E
	v_pk_fma_f32 v[4:5], v[4:5], s[78:79], v[8:9]              // 000000006BF4: D3B04004 1C209D04
	v_pk_fma_f32 v[6:7], v[6:7], s[78:79], v[8:9]              // 000000006BFC: D3B04006 1C209D06
	v_pk_mul_f32 v[4:5], v[4:5], v[60:61]                      // 000000006C04: D3B14004 18027904
	v_pk_mul_f32 v[6:7], v[6:7], v[62:63]                      // 000000006C0C: D3B14006 18027D06
	v_pk_mul_f32 v[4:5], v[4:5], s[60:61]                      // 000000006C14: D3B14004 18007904
	v_pk_mul_f32 v[6:7], v[6:7], s[60:61]                      // 000000006C1C: D3B14006 18007906
	v_exp_f32_e32 v4, v4                                       // 000000006C24: 7E084104
	v_exp_f32_e32 v5, v5                                       // 000000006C28: 7E0A4105
	v_exp_f32_e32 v6, v6                                       // 000000006C2C: 7E0C4106
	v_exp_f32_e32 v7, v7                                       // 000000006C30: 7E0E4107
	v_add_f32_e64 v4, v4, 1.0                                  // 000000006C34: D1010004 0001E504
	v_add_f32_e64 v5, v5, 1.0                                  // 000000006C3C: D1010005 0001E505
	v_add_f32_e64 v6, v6, 1.0                                  // 000000006C44: D1010006 0001E506
	v_add_f32_e64 v7, v7, 1.0                                  // 000000006C4C: D1010007 0001E507
	v_rcp_f32_e32 v4, v4                                       // 000000006C54: 7E084504
	v_rcp_f32_e32 v5, v5                                       // 000000006C58: 7E0A4505
	v_rcp_f32_e32 v6, v6                                       // 000000006C5C: 7E0C4506
	v_rcp_f32_e32 v7, v7                                       // 000000006C60: 7E0E4507
	v_mul_f32_e32 v60, v60, v4                                 // 000000006C64: 0A78093C
	v_mul_f32_e32 v61, v61, v5                                 // 000000006C68: 0A7A0B3D
	v_mul_f32_e32 v62, v62, v6                                 // 000000006C6C: 0A7C0D3E
	v_mul_f32_e32 v63, v63, v7                                 // 000000006C70: 0A7E0F3F
	v_mul_f32_e32 v60, v60, v76                                // 000000006C74: 0A78993C
	v_mul_f32_e32 v61, v61, v77                                // 000000006C78: 0A7A9B3D
	v_mul_f32_e32 v62, v62, v78                                // 000000006C7C: 0A7C9D3E
	v_mul_f32_e32 v63, v63, v79                                // 000000006C80: 0A7E9F3F
	v_pk_mul_f32 v[4:5], v[64:65], v[64:65]                    // 000000006C84: D3B14004 18028140
	v_pk_mul_f32 v[6:7], v[66:67], v[66:67]                    // 000000006C8C: D3B14006 18028542
	v_pk_fma_f32 v[4:5], v[4:5], s[78:79], v[8:9]              // 000000006C94: D3B04004 1C209D04
	v_pk_fma_f32 v[6:7], v[6:7], s[78:79], v[8:9]              // 000000006C9C: D3B04006 1C209D06
	v_pk_mul_f32 v[4:5], v[4:5], v[64:65]                      // 000000006CA4: D3B14004 18028104
	v_pk_mul_f32 v[6:7], v[6:7], v[66:67]                      // 000000006CAC: D3B14006 18028506
	v_pk_mul_f32 v[4:5], v[4:5], s[60:61]                      // 000000006CB4: D3B14004 18007904
	v_pk_mul_f32 v[6:7], v[6:7], s[60:61]                      // 000000006CBC: D3B14006 18007906
	v_exp_f32_e32 v4, v4                                       // 000000006CC4: 7E084104
	v_exp_f32_e32 v5, v5                                       // 000000006CC8: 7E0A4105
	v_exp_f32_e32 v6, v6                                       // 000000006CCC: 7E0C4106
	v_exp_f32_e32 v7, v7                                       // 000000006CD0: 7E0E4107
	v_add_f32_e64 v4, v4, 1.0                                  // 000000006CD4: D1010004 0001E504
	v_add_f32_e64 v5, v5, 1.0                                  // 000000006CDC: D1010005 0001E505
	v_add_f32_e64 v6, v6, 1.0                                  // 000000006CE4: D1010006 0001E506
	v_add_f32_e64 v7, v7, 1.0                                  // 000000006CEC: D1010007 0001E507
	v_rcp_f32_e32 v4, v4                                       // 000000006CF4: 7E084504
	v_rcp_f32_e32 v5, v5                                       // 000000006CF8: 7E0A4505
	v_rcp_f32_e32 v6, v6                                       // 000000006CFC: 7E0C4506
	v_rcp_f32_e32 v7, v7                                       // 000000006D00: 7E0E4507
	v_mul_f32_e32 v64, v64, v4                                 // 000000006D04: 0A800940
	v_mul_f32_e32 v65, v65, v5                                 // 000000006D08: 0A820B41
	v_mul_f32_e32 v66, v66, v6                                 // 000000006D0C: 0A840D42
	v_mul_f32_e32 v67, v67, v7                                 // 000000006D10: 0A860F43
	v_mul_f32_e32 v64, v64, v80                                // 000000006D14: 0A80A140
	v_mul_f32_e32 v65, v65, v81                                // 000000006D18: 0A82A341
	v_mul_f32_e32 v66, v66, v82                                // 000000006D1C: 0A84A542
	v_mul_f32_e32 v67, v67, v83                                // 000000006D20: 0A86A743
	v_pk_mul_f32 v[4:5], v[68:69], v[68:69]                    // 000000006D24: D3B14004 18028944
	v_pk_mul_f32 v[6:7], v[70:71], v[70:71]                    // 000000006D2C: D3B14006 18028D46
	v_pk_fma_f32 v[4:5], v[4:5], s[78:79], v[8:9]              // 000000006D34: D3B04004 1C209D04
	v_pk_fma_f32 v[6:7], v[6:7], s[78:79], v[8:9]              // 000000006D3C: D3B04006 1C209D06
	v_pk_mul_f32 v[4:5], v[4:5], v[68:69]                      // 000000006D44: D3B14004 18028904
	v_pk_mul_f32 v[6:7], v[6:7], v[70:71]                      // 000000006D4C: D3B14006 18028D06
	v_pk_mul_f32 v[4:5], v[4:5], s[60:61]                      // 000000006D54: D3B14004 18007904
	v_pk_mul_f32 v[6:7], v[6:7], s[60:61]                      // 000000006D5C: D3B14006 18007906
	v_exp_f32_e32 v4, v4                                       // 000000006D64: 7E084104
	v_exp_f32_e32 v5, v5                                       // 000000006D68: 7E0A4105
	v_exp_f32_e32 v6, v6                                       // 000000006D6C: 7E0C4106
	v_exp_f32_e32 v7, v7                                       // 000000006D70: 7E0E4107
	v_add_f32_e64 v4, v4, 1.0                                  // 000000006D74: D1010004 0001E504
	v_add_f32_e64 v5, v5, 1.0                                  // 000000006D7C: D1010005 0001E505
	v_add_f32_e64 v6, v6, 1.0                                  // 000000006D84: D1010006 0001E506
	v_add_f32_e64 v7, v7, 1.0                                  // 000000006D8C: D1010007 0001E507
	v_rcp_f32_e32 v4, v4                                       // 000000006D94: 7E084504
	v_rcp_f32_e32 v5, v5                                       // 000000006D98: 7E0A4505
	v_rcp_f32_e32 v6, v6                                       // 000000006D9C: 7E0C4506
	v_rcp_f32_e32 v7, v7                                       // 000000006DA0: 7E0E4507
	v_mul_f32_e32 v68, v68, v4                                 // 000000006DA4: 0A880944
	v_mul_f32_e32 v69, v69, v5                                 // 000000006DA8: 0A8A0B45
	v_mul_f32_e32 v70, v70, v6                                 // 000000006DAC: 0A8C0D46
	v_mul_f32_e32 v71, v71, v7                                 // 000000006DB0: 0A8E0F47
	v_mul_f32_e32 v68, v68, v84                                // 000000006DB4: 0A88A944
	v_mul_f32_e32 v69, v69, v85                                // 000000006DB8: 0A8AAB45
	v_mul_f32_e32 v70, v70, v86                                // 000000006DBC: 0A8CAD46
	v_mul_f32_e32 v71, v71, v87                                // 000000006DC0: 0A8EAF47
	s_branch label_1175                                        // 000000006DC4: BF820080

0000000000006dc8 <label_10F5>:
	v_mul_f32_e64 v4, -v56, s6                                 // 000000006DC8: D1050004 20000D38
	v_mul_f32_e64 v5, -v57, s6                                 // 000000006DD0: D1050005 20000D39
	v_mul_f32_e64 v6, -v58, s6                                 // 000000006DD8: D1050006 20000D3A
	v_mul_f32_e64 v7, -v59, s6                                 // 000000006DE0: D1050007 20000D3B
	v_exp_f32_e32 v4, v4                                       // 000000006DE8: 7E084104
	v_exp_f32_e32 v5, v5                                       // 000000006DEC: 7E0A4105
	v_exp_f32_e32 v6, v6                                       // 000000006DF0: 7E0C4106
	v_exp_f32_e32 v7, v7                                       // 000000006DF4: 7E0E4107
	v_add_f32_e64 v4, v4, 1.0                                  // 000000006DF8: D1010004 0001E504
	v_add_f32_e64 v5, v5, 1.0                                  // 000000006E00: D1010005 0001E505
	v_add_f32_e64 v6, v6, 1.0                                  // 000000006E08: D1010006 0001E506
	v_add_f32_e64 v7, v7, 1.0                                  // 000000006E10: D1010007 0001E507
	v_rcp_f32_e32 v4, v4                                       // 000000006E18: 7E084504
	v_rcp_f32_e32 v5, v5                                       // 000000006E1C: 7E0A4505
	v_rcp_f32_e32 v6, v6                                       // 000000006E20: 7E0C4506
	v_rcp_f32_e32 v7, v7                                       // 000000006E24: 7E0E4507
	v_mul_f32_e32 v56, v56, v4                                 // 000000006E28: 0A700938
	v_mul_f32_e32 v57, v57, v5                                 // 000000006E2C: 0A720B39
	v_mul_f32_e32 v58, v58, v6                                 // 000000006E30: 0A740D3A
	v_mul_f32_e32 v59, v59, v7                                 // 000000006E34: 0A760F3B
	v_mul_f32_e32 v56, v56, v72                                // 000000006E38: 0A709138
	v_mul_f32_e32 v57, v57, v73                                // 000000006E3C: 0A729339
	v_mul_f32_e32 v58, v58, v74                                // 000000006E40: 0A74953A
	v_mul_f32_e32 v59, v59, v75                                // 000000006E44: 0A76973B
	v_mul_f32_e64 v4, -v60, s6                                 // 000000006E48: D1050004 20000D3C
	v_mul_f32_e64 v5, -v61, s6                                 // 000000006E50: D1050005 20000D3D
	v_mul_f32_e64 v6, -v62, s6                                 // 000000006E58: D1050006 20000D3E
	v_mul_f32_e64 v7, -v63, s6                                 // 000000006E60: D1050007 20000D3F
	v_exp_f32_e32 v4, v4                                       // 000000006E68: 7E084104
	v_exp_f32_e32 v5, v5                                       // 000000006E6C: 7E0A4105
	v_exp_f32_e32 v6, v6                                       // 000000006E70: 7E0C4106
	v_exp_f32_e32 v7, v7                                       // 000000006E74: 7E0E4107
	v_add_f32_e64 v4, v4, 1.0                                  // 000000006E78: D1010004 0001E504
	v_add_f32_e64 v5, v5, 1.0                                  // 000000006E80: D1010005 0001E505
	v_add_f32_e64 v6, v6, 1.0                                  // 000000006E88: D1010006 0001E506
	v_add_f32_e64 v7, v7, 1.0                                  // 000000006E90: D1010007 0001E507
	v_rcp_f32_e32 v4, v4                                       // 000000006E98: 7E084504
	v_rcp_f32_e32 v5, v5                                       // 000000006E9C: 7E0A4505
	v_rcp_f32_e32 v6, v6                                       // 000000006EA0: 7E0C4506
	v_rcp_f32_e32 v7, v7                                       // 000000006EA4: 7E0E4507
	v_mul_f32_e32 v60, v60, v4                                 // 000000006EA8: 0A78093C
	v_mul_f32_e32 v61, v61, v5                                 // 000000006EAC: 0A7A0B3D
	v_mul_f32_e32 v62, v62, v6                                 // 000000006EB0: 0A7C0D3E
	v_mul_f32_e32 v63, v63, v7                                 // 000000006EB4: 0A7E0F3F
	v_mul_f32_e32 v60, v60, v76                                // 000000006EB8: 0A78993C
	v_mul_f32_e32 v61, v61, v77                                // 000000006EBC: 0A7A9B3D
	v_mul_f32_e32 v62, v62, v78                                // 000000006EC0: 0A7C9D3E
	v_mul_f32_e32 v63, v63, v79                                // 000000006EC4: 0A7E9F3F
	v_mul_f32_e64 v4, -v64, s6                                 // 000000006EC8: D1050004 20000D40
	v_mul_f32_e64 v5, -v65, s6                                 // 000000006ED0: D1050005 20000D41
	v_mul_f32_e64 v6, -v66, s6                                 // 000000006ED8: D1050006 20000D42
	v_mul_f32_e64 v7, -v67, s6                                 // 000000006EE0: D1050007 20000D43
	v_exp_f32_e32 v4, v4                                       // 000000006EE8: 7E084104
	v_exp_f32_e32 v5, v5                                       // 000000006EEC: 7E0A4105
	v_exp_f32_e32 v6, v6                                       // 000000006EF0: 7E0C4106
	v_exp_f32_e32 v7, v7                                       // 000000006EF4: 7E0E4107
	v_add_f32_e64 v4, v4, 1.0                                  // 000000006EF8: D1010004 0001E504
	v_add_f32_e64 v5, v5, 1.0                                  // 000000006F00: D1010005 0001E505
	v_add_f32_e64 v6, v6, 1.0                                  // 000000006F08: D1010006 0001E506
	v_add_f32_e64 v7, v7, 1.0                                  // 000000006F10: D1010007 0001E507
	v_rcp_f32_e32 v4, v4                                       // 000000006F18: 7E084504
	v_rcp_f32_e32 v5, v5                                       // 000000006F1C: 7E0A4505
	v_rcp_f32_e32 v6, v6                                       // 000000006F20: 7E0C4506
	v_rcp_f32_e32 v7, v7                                       // 000000006F24: 7E0E4507
	v_mul_f32_e32 v64, v64, v4                                 // 000000006F28: 0A800940
	v_mul_f32_e32 v65, v65, v5                                 // 000000006F2C: 0A820B41
	v_mul_f32_e32 v66, v66, v6                                 // 000000006F30: 0A840D42
	v_mul_f32_e32 v67, v67, v7                                 // 000000006F34: 0A860F43
	v_mul_f32_e32 v64, v64, v80                                // 000000006F38: 0A80A140
	v_mul_f32_e32 v65, v65, v81                                // 000000006F3C: 0A82A341
	v_mul_f32_e32 v66, v66, v82                                // 000000006F40: 0A84A542
	v_mul_f32_e32 v67, v67, v83                                // 000000006F44: 0A86A743
	v_mul_f32_e64 v4, -v68, s6                                 // 000000006F48: D1050004 20000D44
	v_mul_f32_e64 v5, -v69, s6                                 // 000000006F50: D1050005 20000D45
	v_mul_f32_e64 v6, -v70, s6                                 // 000000006F58: D1050006 20000D46
	v_mul_f32_e64 v7, -v71, s6                                 // 000000006F60: D1050007 20000D47
	v_exp_f32_e32 v4, v4                                       // 000000006F68: 7E084104
	v_exp_f32_e32 v5, v5                                       // 000000006F6C: 7E0A4105
	v_exp_f32_e32 v6, v6                                       // 000000006F70: 7E0C4106
	v_exp_f32_e32 v7, v7                                       // 000000006F74: 7E0E4107
	v_add_f32_e64 v4, v4, 1.0                                  // 000000006F78: D1010004 0001E504
	v_add_f32_e64 v5, v5, 1.0                                  // 000000006F80: D1010005 0001E505
	v_add_f32_e64 v6, v6, 1.0                                  // 000000006F88: D1010006 0001E506
	v_add_f32_e64 v7, v7, 1.0                                  // 000000006F90: D1010007 0001E507
	v_rcp_f32_e32 v4, v4                                       // 000000006F98: 7E084504
	v_rcp_f32_e32 v5, v5                                       // 000000006F9C: 7E0A4505
	v_rcp_f32_e32 v6, v6                                       // 000000006FA0: 7E0C4506
	v_rcp_f32_e32 v7, v7                                       // 000000006FA4: 7E0E4507
	v_mul_f32_e32 v68, v68, v4                                 // 000000006FA8: 0A880944
	v_mul_f32_e32 v69, v69, v5                                 // 000000006FAC: 0A8A0B45
	v_mul_f32_e32 v70, v70, v6                                 // 000000006FB0: 0A8C0D46
	v_mul_f32_e32 v71, v71, v7                                 // 000000006FB4: 0A8E0F47
	v_mul_f32_e32 v68, v68, v84                                // 000000006FB8: 0A88A944
	v_mul_f32_e32 v69, v69, v85                                // 000000006FBC: 0A8AAB45
	v_mul_f32_e32 v70, v70, v86                                // 000000006FC0: 0A8CAD46
	v_mul_f32_e32 v71, v71, v87                                // 000000006FC4: 0A8EAF47

0000000000006fc8 <label_1175>:
	v_cmp_u_f32_e64 s[46:47], v56, v56                         // 000000006FC8: D048002E 00027138
	v_add3_u32 v16, v56, v19, 1                                // 000000006FD0: D1FF0010 02062738
	v_cndmask_b32_e64 v4, v16, v18, s[46:47]                   // 000000006FD8: D1000004 00BA2510
	v_cmp_u_f32_e64 s[46:47], v57, v57                         // 000000006FE0: D048002E 00027339
	v_add3_u32 v16, v57, v19, 1                                // 000000006FE8: D1FF0010 02062739
	v_cndmask_b32_e64 v5, v16, v18, s[46:47]                   // 000000006FF0: D1000005 00BA2510
	v_perm_b32 v56, v5, v4, s52                                // 000000006FF8: D1ED0038 00D20905
	v_cmp_u_f32_e64 s[46:47], v58, v58                         // 000000007000: D048002E 0002753A
	v_add3_u32 v16, v58, v19, 1                                // 000000007008: D1FF0010 0206273A
	v_cndmask_b32_e64 v4, v16, v18, s[46:47]                   // 000000007010: D1000004 00BA2510
	v_cmp_u_f32_e64 s[46:47], v59, v59                         // 000000007018: D048002E 0002773B
	v_add3_u32 v16, v59, v19, 1                                // 000000007020: D1FF0010 0206273B
	v_cndmask_b32_e64 v5, v16, v18, s[46:47]                   // 000000007028: D1000005 00BA2510
	v_perm_b32 v57, v5, v4, s52                                // 000000007030: D1ED0039 00D20905
	v_cmp_u_f32_e64 s[46:47], v60, v60                         // 000000007038: D048002E 0002793C
	v_add3_u32 v16, v60, v19, 1                                // 000000007040: D1FF0010 0206273C
	v_cndmask_b32_e64 v4, v16, v18, s[46:47]                   // 000000007048: D1000004 00BA2510
	v_cmp_u_f32_e64 s[46:47], v61, v61                         // 000000007050: D048002E 00027B3D
	v_add3_u32 v16, v61, v19, 1                                // 000000007058: D1FF0010 0206273D
	v_cndmask_b32_e64 v5, v16, v18, s[46:47]                   // 000000007060: D1000005 00BA2510
	v_perm_b32 v58, v5, v4, s52                                // 000000007068: D1ED003A 00D20905
	v_cmp_u_f32_e64 s[46:47], v62, v62                         // 000000007070: D048002E 00027D3E
	v_add3_u32 v16, v62, v19, 1                                // 000000007078: D1FF0010 0206273E
	v_cndmask_b32_e64 v4, v16, v18, s[46:47]                   // 000000007080: D1000004 00BA2510
	v_cmp_u_f32_e64 s[46:47], v63, v63                         // 000000007088: D048002E 00027F3F
	v_add3_u32 v16, v63, v19, 1                                // 000000007090: D1FF0010 0206273F
	v_cndmask_b32_e64 v5, v16, v18, s[46:47]                   // 000000007098: D1000005 00BA2510
	v_perm_b32 v59, v5, v4, s52                                // 0000000070A0: D1ED003B 00D20905
	v_cmp_u_f32_e64 s[46:47], v64, v64                         // 0000000070A8: D048002E 00028140
	v_add3_u32 v16, v64, v19, 1                                // 0000000070B0: D1FF0010 02062740
	v_cndmask_b32_e64 v4, v16, v18, s[46:47]                   // 0000000070B8: D1000004 00BA2510
	v_cmp_u_f32_e64 s[46:47], v65, v65                         // 0000000070C0: D048002E 00028341
	v_add3_u32 v16, v65, v19, 1                                // 0000000070C8: D1FF0010 02062741
	v_cndmask_b32_e64 v5, v16, v18, s[46:47]                   // 0000000070D0: D1000005 00BA2510
	v_perm_b32 v60, v5, v4, s52                                // 0000000070D8: D1ED003C 00D20905
	v_cmp_u_f32_e64 s[46:47], v66, v66                         // 0000000070E0: D048002E 00028542
	v_add3_u32 v16, v66, v19, 1                                // 0000000070E8: D1FF0010 02062742
	v_cndmask_b32_e64 v4, v16, v18, s[46:47]                   // 0000000070F0: D1000004 00BA2510
	v_cmp_u_f32_e64 s[46:47], v67, v67                         // 0000000070F8: D048002E 00028743
	v_add3_u32 v16, v67, v19, 1                                // 000000007100: D1FF0010 02062743
	v_cndmask_b32_e64 v5, v16, v18, s[46:47]                   // 000000007108: D1000005 00BA2510
	v_perm_b32 v61, v5, v4, s52                                // 000000007110: D1ED003D 00D20905
	v_cmp_u_f32_e64 s[46:47], v68, v68                         // 000000007118: D048002E 00028944
	v_add3_u32 v16, v68, v19, 1                                // 000000007120: D1FF0010 02062744
	v_cndmask_b32_e64 v4, v16, v18, s[46:47]                   // 000000007128: D1000004 00BA2510
	v_cmp_u_f32_e64 s[46:47], v69, v69                         // 000000007130: D048002E 00028B45
	v_add3_u32 v16, v69, v19, 1                                // 000000007138: D1FF0010 02062745
	v_cndmask_b32_e64 v5, v16, v18, s[46:47]                   // 000000007140: D1000005 00BA2510
	v_perm_b32 v62, v5, v4, s52                                // 000000007148: D1ED003E 00D20905
	v_cmp_u_f32_e64 s[46:47], v70, v70                         // 000000007150: D048002E 00028D46
	v_add3_u32 v16, v70, v19, 1                                // 000000007158: D1FF0010 02062746
	v_cndmask_b32_e64 v4, v16, v18, s[46:47]                   // 000000007160: D1000004 00BA2510
	v_cmp_u_f32_e64 s[46:47], v71, v71                         // 000000007168: D048002E 00028F47
	v_add3_u32 v16, v71, v19, 1                                // 000000007170: D1FF0010 02062747
	v_cndmask_b32_e64 v5, v16, v18, s[46:47]                   // 000000007178: D1000005 00BA2510
	v_perm_b32 v63, v5, v4, s52                                // 000000007180: D1ED003F 00D20905
	ds_write_b64 v20, v[56:57]                                 // 000000007188: D89A0000 00003814
	ds_write_b64 v20, v[58:59] offset:2176                     // 000000007190: D89A0880 00003A14
	ds_write_b64 v20, v[60:61] offset:4352                     // 000000007198: D89A1100 00003C14
	ds_write_b64 v20, v[62:63] offset:6528                     // 0000000071A0: D89A1980 00003E14
	v_lshrrev_b32_e32 v4, 5, v0                                // 0000000071A8: 20080085
	v_xor_b32_e32 v5, 1, v4                                    // 0000000071AC: 2A0A0881
	s_mul_i32 s60, s65, 2                                      // 0000000071B0: 923C8241
	s_cmp_eq_u32 s88, 0                                        // 0000000071B4: BF068058
	s_cselect_b32 s61, 1, 4                                    // 0000000071B8: 853D8481
	s_mul_i32 s60, s61, s60                                    // 0000000071BC: 923C3C3D
	v_readlane_b32 s82, v3, 0                                  // 0000000071C0: D2890052 00010103
	s_lshr_b32 s61, s82, 24                                    // 0000000071C8: 8F3D9852
	s_and_b32 s82, s82, 0xffffff                               // 0000000071CC: 8652FF52 00FFFFFF
	s_mul_i32 s82, s82, s71                                    // 0000000071D4: 92524752
	s_mul_i32 s61, s60, s61                                    // 0000000071D8: 923D3D3C
	s_add_u32 s82, s82, s61                                    // 0000000071DC: 80523D52
	v_mul_lo_u32 v6, v5, s82                                   // 0000000071E0: D2850006 0000A505
	v_readlane_b32 s82, v3, 1                                  // 0000000071E8: D2890052 00010303
	s_lshr_b32 s61, s82, 24                                    // 0000000071F0: 8F3D9852
	s_and_b32 s82, s82, 0xffffff                               // 0000000071F4: 8652FF52 00FFFFFF
	s_mul_i32 s82, s82, s71                                    // 0000000071FC: 92524752
	s_mul_i32 s61, s60, s61                                    // 000000007200: 923D3D3C
	s_add_u32 s82, s82, s61                                    // 000000007204: 80523D52
	v_mul_lo_u32 v7, v4, s82                                   // 000000007208: D2850007 0000A504
	v_add_u32_e32 v46, v6, v7                                  // 000000007210: 685C0F06
	v_readlane_b32 s82, v3, 2                                  // 000000007214: D2890052 00010503
	s_lshr_b32 s61, s82, 24                                    // 00000000721C: 8F3D9852
	s_and_b32 s82, s82, 0xffffff                               // 000000007220: 8652FF52 00FFFFFF
	s_mul_i32 s82, s82, s71                                    // 000000007228: 92524752
	s_mul_i32 s61, s60, s61                                    // 00000000722C: 923D3D3C
	s_add_u32 s82, s82, s61                                    // 000000007230: 80523D52
	v_mul_lo_u32 v6, v5, s82                                   // 000000007234: D2850006 0000A505
	v_readlane_b32 s82, v3, 3                                  // 00000000723C: D2890052 00010703
	s_lshr_b32 s61, s82, 24                                    // 000000007244: 8F3D9852
	s_and_b32 s82, s82, 0xffffff                               // 000000007248: 8652FF52 00FFFFFF
	s_mul_i32 s82, s82, s71                                    // 000000007250: 92524752
	s_mul_i32 s61, s60, s61                                    // 000000007254: 923D3D3C
	s_add_u32 s82, s82, s61                                    // 000000007258: 80523D52
	v_mul_lo_u32 v7, v4, s82                                   // 00000000725C: D2850007 0000A504
	v_add_u32_e32 v47, v6, v7                                  // 000000007264: 685E0F06
	v_readlane_b32 s82, v3, 4                                  // 000000007268: D2890052 00010903
	s_lshr_b32 s61, s82, 24                                    // 000000007270: 8F3D9852
	s_and_b32 s82, s82, 0xffffff                               // 000000007274: 8652FF52 00FFFFFF
	s_mul_i32 s82, s82, s71                                    // 00000000727C: 92524752
	s_mul_i32 s61, s60, s61                                    // 000000007280: 923D3D3C
	s_add_u32 s82, s82, s61                                    // 000000007284: 80523D52
	v_mul_lo_u32 v6, v5, s82                                   // 000000007288: D2850006 0000A505
	v_readlane_b32 s82, v3, 5                                  // 000000007290: D2890052 00010B03
	s_lshr_b32 s61, s82, 24                                    // 000000007298: 8F3D9852
	s_and_b32 s82, s82, 0xffffff                               // 00000000729C: 8652FF52 00FFFFFF
	s_mul_i32 s82, s82, s71                                    // 0000000072A4: 92524752
	s_mul_i32 s61, s60, s61                                    // 0000000072A8: 923D3D3C
	s_add_u32 s82, s82, s61                                    // 0000000072AC: 80523D52
	v_mul_lo_u32 v7, v4, s82                                   // 0000000072B0: D2850007 0000A504
	v_add_u32_e32 v48, v6, v7                                  // 0000000072B8: 68600F06
	v_readlane_b32 s82, v3, 6                                  // 0000000072BC: D2890052 00010D03
	s_lshr_b32 s61, s82, 24                                    // 0000000072C4: 8F3D9852
	s_and_b32 s82, s82, 0xffffff                               // 0000000072C8: 8652FF52 00FFFFFF
	s_mul_i32 s82, s82, s71                                    // 0000000072D0: 92524752
	s_mul_i32 s61, s60, s61                                    // 0000000072D4: 923D3D3C
	s_add_u32 s82, s82, s61                                    // 0000000072D8: 80523D52
	v_mul_lo_u32 v6, v5, s82                                   // 0000000072DC: D2850006 0000A505
	v_readlane_b32 s82, v3, 7                                  // 0000000072E4: D2890052 00010F03
	s_lshr_b32 s61, s82, 24                                    // 0000000072EC: 8F3D9852
	s_and_b32 s82, s82, 0xffffff                               // 0000000072F0: 8652FF52 00FFFFFF
	s_mul_i32 s82, s82, s71                                    // 0000000072F8: 92524752
	s_mul_i32 s61, s60, s61                                    // 0000000072FC: 923D3D3C
	s_add_u32 s82, s82, s61                                    // 000000007300: 80523D52
	v_mul_lo_u32 v7, v4, s82                                   // 000000007304: D2850007 0000A504
	v_add_u32_e32 v49, v6, v7                                  // 00000000730C: 68620F06
	v_readlane_b32 s82, v3, 8                                  // 000000007310: D2890052 00011103
	s_lshr_b32 s61, s82, 24                                    // 000000007318: 8F3D9852
	s_and_b32 s82, s82, 0xffffff                               // 00000000731C: 8652FF52 00FFFFFF
	s_mul_i32 s82, s82, s71                                    // 000000007324: 92524752
	s_mul_i32 s61, s60, s61                                    // 000000007328: 923D3D3C
	s_add_u32 s82, s82, s61                                    // 00000000732C: 80523D52
	v_mul_lo_u32 v6, v5, s82                                   // 000000007330: D2850006 0000A505
	v_readlane_b32 s82, v3, 9                                  // 000000007338: D2890052 00011303
	s_lshr_b32 s61, s82, 24                                    // 000000007340: 8F3D9852
	s_and_b32 s82, s82, 0xffffff                               // 000000007344: 8652FF52 00FFFFFF
	s_mul_i32 s82, s82, s71                                    // 00000000734C: 92524752
	s_mul_i32 s61, s60, s61                                    // 000000007350: 923D3D3C
	s_add_u32 s82, s82, s61                                    // 000000007354: 80523D52
	v_mul_lo_u32 v7, v4, s82                                   // 000000007358: D2850007 0000A504
	v_add_u32_e32 v50, v6, v7                                  // 000000007360: 68640F06
	v_readlane_b32 s82, v3, 10                                 // 000000007364: D2890052 00011503
	s_lshr_b32 s61, s82, 24                                    // 00000000736C: 8F3D9852
	s_and_b32 s82, s82, 0xffffff                               // 000000007370: 8652FF52 00FFFFFF
	s_mul_i32 s82, s82, s71                                    // 000000007378: 92524752
	s_mul_i32 s61, s60, s61                                    // 00000000737C: 923D3D3C
	s_add_u32 s82, s82, s61                                    // 000000007380: 80523D52
	v_mul_lo_u32 v6, v5, s82                                   // 000000007384: D2850006 0000A505
	v_readlane_b32 s82, v3, 11                                 // 00000000738C: D2890052 00011703
	s_lshr_b32 s61, s82, 24                                    // 000000007394: 8F3D9852
	s_and_b32 s82, s82, 0xffffff                               // 000000007398: 8652FF52 00FFFFFF
	s_mul_i32 s82, s82, s71                                    // 0000000073A0: 92524752
	s_mul_i32 s61, s60, s61                                    // 0000000073A4: 923D3D3C
	s_add_u32 s82, s82, s61                                    // 0000000073A8: 80523D52
	v_mul_lo_u32 v7, v4, s82                                   // 0000000073AC: D2850007 0000A504
	v_add_u32_e32 v51, v6, v7                                  // 0000000073B4: 68660F06
	v_readlane_b32 s82, v3, 12                                 // 0000000073B8: D2890052 00011903
	s_lshr_b32 s61, s82, 24                                    // 0000000073C0: 8F3D9852
	s_and_b32 s82, s82, 0xffffff                               // 0000000073C4: 8652FF52 00FFFFFF
	s_mul_i32 s82, s82, s71                                    // 0000000073CC: 92524752
	s_mul_i32 s61, s60, s61                                    // 0000000073D0: 923D3D3C
	s_add_u32 s82, s82, s61                                    // 0000000073D4: 80523D52
	v_mul_lo_u32 v6, v5, s82                                   // 0000000073D8: D2850006 0000A505
	v_readlane_b32 s82, v3, 13                                 // 0000000073E0: D2890052 00011B03
	s_lshr_b32 s61, s82, 24                                    // 0000000073E8: 8F3D9852
	s_and_b32 s82, s82, 0xffffff                               // 0000000073EC: 8652FF52 00FFFFFF
	s_mul_i32 s82, s82, s71                                    // 0000000073F4: 92524752
	s_mul_i32 s61, s60, s61                                    // 0000000073F8: 923D3D3C
	s_add_u32 s82, s82, s61                                    // 0000000073FC: 80523D52
	v_mul_lo_u32 v7, v4, s82                                   // 000000007400: D2850007 0000A504
	v_add_u32_e32 v52, v6, v7                                  // 000000007408: 68680F06
	v_readlane_b32 s82, v3, 14                                 // 00000000740C: D2890052 00011D03
	s_lshr_b32 s61, s82, 24                                    // 000000007414: 8F3D9852
	s_and_b32 s82, s82, 0xffffff                               // 000000007418: 8652FF52 00FFFFFF
	s_mul_i32 s82, s82, s71                                    // 000000007420: 92524752
	s_mul_i32 s61, s60, s61                                    // 000000007424: 923D3D3C
	s_add_u32 s82, s82, s61                                    // 000000007428: 80523D52
	v_mul_lo_u32 v6, v5, s82                                   // 00000000742C: D2850006 0000A505
	v_readlane_b32 s82, v3, 15                                 // 000000007434: D2890052 00011F03
	s_lshr_b32 s61, s82, 24                                    // 00000000743C: 8F3D9852
	s_and_b32 s82, s82, 0xffffff                               // 000000007440: 8652FF52 00FFFFFF
	s_mul_i32 s82, s82, s71                                    // 000000007448: 92524752
	s_mul_i32 s61, s60, s61                                    // 00000000744C: 923D3D3C
	s_add_u32 s82, s82, s61                                    // 000000007450: 80523D52
	v_mul_lo_u32 v7, v4, s82                                   // 000000007454: D2850007 0000A504
	v_add_u32_e32 v53, v6, v7                                  // 00000000745C: 686A0F06
	v_and_b32_e32 v4, 31, v0                                   // 000000007460: 2608009F
	v_lshrrev_b32_e32 v4, 1, v4                                // 000000007464: 20080881
	s_cmp_eq_u32 s88, 0                                        // 000000007468: BF068058
	s_cselect_b32 s61, 2, 4                                    // 00000000746C: 853D8482
	v_mul_lo_u32 v4, v4, s61                                   // 000000007470: D2850004 00007B04
	v_and_b32_e64 v5, v0, 1                                    // 000000007478: D1130005 00010300
	v_add_u32_e32 v4, v4, v5                                   // 000000007480: 68080B04
	v_lshlrev_b32_e32 v4, 2, v4                                // 000000007484: 24080882
	v_add_u32_e32 v46, v46, v4                                 // 000000007488: 685C092E
	v_add_u32_e32 v47, v47, v4                                 // 00000000748C: 685E092F
	v_add_u32_e32 v48, v48, v4                                 // 000000007490: 68600930
	v_add_u32_e32 v49, v49, v4                                 // 000000007494: 68620931
	;; [unrolled: 1-line block ×3, first 2 shown]
	v_add_u32_e32 v51, v51, v4                                 // 00000000749C: 68660933
	v_add_u32_e32 v52, v52, v4                                 // 0000000074A0: 68680934
	v_add_u32_e32 v53, v53, v4                                 // 0000000074A4: 686A0935
	s_waitcnt lgkmcnt(0)                                       // 0000000074A8: BF8CC07F
	s_barrier                                                  // 0000000074AC: BF8A0000
	ds_read_b32 v56, v21                                       // 0000000074B0: D86C0000 38000015
	ds_read_b32 v57, v21 offset:64                             // 0000000074B8: D86C0040 39000015
	ds_read_b32 v58, v21 offset:2176                           // 0000000074C0: D86C0880 3A000015
	ds_read_b32 v59, v21 offset:2240                           // 0000000074C8: D86C08C0 3B000015
	ds_read_b32 v60, v21 offset:4352                           // 0000000074D0: D86C1100 3C000015
	ds_read_b32 v61, v21 offset:4416                           // 0000000074D8: D86C1140 3D000015
	ds_read_b32 v62, v21 offset:6528                           // 0000000074E0: D86C1980 3E000015
	ds_read_b32 v63, v21 offset:6592                           // 0000000074E8: D86C19C0 3F000015
	s_waitcnt lgkmcnt(0)                                       // 0000000074F0: BF8CC07F
	s_mov_b32 s36, -1                                          // 0000000074F4: BEA400C1
	s_mov_b32 s37, -1                                          // 0000000074F8: BEA500C1
	v_mov_b32_e32 v7, 0                                        // 0000000074FC: 7E0E0280
	s_or_b32 s9, s9, 0x40000                                   // 000000007500: 8709FF09 00040000
	s_mov_b64 exec, s[36:37]                                   // 000000007508: BEFE0124
	v_mov_b32_e32 v6, v46                                      // 00000000750C: 7E0C032E
	s_mov_b64 s[60:61], 0                                      // 000000007510: BEBC0180
	v_readlane_b32 s82, v3, 0                                  // 000000007514: D2890052 00010103
	s_and_b32 s82, s82, 0xffffff                               // 00000000751C: 8652FF52 00FFFFFF
	s_cmp_lt_u32 s82, s66                                      // 000000007524: BF0A4252
	s_cselect_b32 s20, s36, s60                                // 000000007528: 85143C24
	v_readlane_b32 s82, v3, 1                                  // 00000000752C: D2890052 00010303
	s_and_b32 s82, s82, 0xffffff                               // 000000007534: 8652FF52 00FFFFFF
	s_cmp_lt_u32 s82, s66                                      // 00000000753C: BF0A4252
	s_cselect_b32 s21, s36, s60                                // 000000007540: 85153C24
	s_mov_b64 exec, s[20:21]                                   // 000000007544: BEFE0114
	buffer_store_dword v56, v6, s[8:11], 0 offen               // 000000007548: E0701000 80023806
	s_mov_b64 exec, s[36:37]                                   // 000000007550: BEFE0124
	v_mov_b32_e32 v6, v47                                      // 000000007554: 7E0C032F
	s_mov_b64 s[60:61], 0                                      // 000000007558: BEBC0180
	v_readlane_b32 s82, v3, 2                                  // 00000000755C: D2890052 00010503
	s_and_b32 s82, s82, 0xffffff                               // 000000007564: 8652FF52 00FFFFFF
	s_cmp_lt_u32 s82, s66                                      // 00000000756C: BF0A4252
	s_cselect_b32 s20, s36, s60                                // 000000007570: 85143C24
	v_readlane_b32 s82, v3, 3                                  // 000000007574: D2890052 00010703
	s_and_b32 s82, s82, 0xffffff                               // 00000000757C: 8652FF52 00FFFFFF
	s_cmp_lt_u32 s82, s66                                      // 000000007584: BF0A4252
	s_cselect_b32 s21, s36, s60                                // 000000007588: 85153C24
	s_mov_b64 exec, s[20:21]                                   // 00000000758C: BEFE0114
	buffer_store_dword v57, v6, s[8:11], 0 offen               // 000000007590: E0701000 80023906
	s_mov_b64 exec, s[36:37]                                   // 000000007598: BEFE0124
	v_mov_b32_e32 v6, v48                                      // 00000000759C: 7E0C0330
	s_mov_b64 s[60:61], 0                                      // 0000000075A0: BEBC0180
	v_readlane_b32 s82, v3, 4                                  // 0000000075A4: D2890052 00010903
	s_and_b32 s82, s82, 0xffffff                               // 0000000075AC: 8652FF52 00FFFFFF
	s_cmp_lt_u32 s82, s66                                      // 0000000075B4: BF0A4252
	s_cselect_b32 s20, s36, s60                                // 0000000075B8: 85143C24
	v_readlane_b32 s82, v3, 5                                  // 0000000075BC: D2890052 00010B03
	s_and_b32 s82, s82, 0xffffff                               // 0000000075C4: 8652FF52 00FFFFFF
	s_cmp_lt_u32 s82, s66                                      // 0000000075CC: BF0A4252
	s_cselect_b32 s21, s36, s60                                // 0000000075D0: 85153C24
	s_mov_b64 exec, s[20:21]                                   // 0000000075D4: BEFE0114
	buffer_store_dword v58, v6, s[8:11], 0 offen               // 0000000075D8: E0701000 80023A06
	s_mov_b64 exec, s[36:37]                                   // 0000000075E0: BEFE0124
	v_mov_b32_e32 v6, v49                                      // 0000000075E4: 7E0C0331
	s_mov_b64 s[60:61], 0                                      // 0000000075E8: BEBC0180
	v_readlane_b32 s82, v3, 6                                  // 0000000075EC: D2890052 00010D03
	s_and_b32 s82, s82, 0xffffff                               // 0000000075F4: 8652FF52 00FFFFFF
	s_cmp_lt_u32 s82, s66                                      // 0000000075FC: BF0A4252
	s_cselect_b32 s20, s36, s60                                // 000000007600: 85143C24
	v_readlane_b32 s82, v3, 7                                  // 000000007604: D2890052 00010F03
	s_and_b32 s82, s82, 0xffffff                               // 00000000760C: 8652FF52 00FFFFFF
	s_cmp_lt_u32 s82, s66                                      // 000000007614: BF0A4252
	s_cselect_b32 s21, s36, s60                                // 000000007618: 85153C24
	s_mov_b64 exec, s[20:21]                                   // 00000000761C: BEFE0114
	buffer_store_dword v59, v6, s[8:11], 0 offen               // 000000007620: E0701000 80023B06
	s_mov_b64 exec, s[36:37]                                   // 000000007628: BEFE0124
	v_mov_b32_e32 v6, v50                                      // 00000000762C: 7E0C0332
	s_mov_b64 s[60:61], 0                                      // 000000007630: BEBC0180
	v_readlane_b32 s82, v3, 8                                  // 000000007634: D2890052 00011103
	s_and_b32 s82, s82, 0xffffff                               // 00000000763C: 8652FF52 00FFFFFF
	s_cmp_lt_u32 s82, s66                                      // 000000007644: BF0A4252
	s_cselect_b32 s20, s36, s60                                // 000000007648: 85143C24
	v_readlane_b32 s82, v3, 9                                  // 00000000764C: D2890052 00011303
	s_and_b32 s82, s82, 0xffffff                               // 000000007654: 8652FF52 00FFFFFF
	s_cmp_lt_u32 s82, s66                                      // 00000000765C: BF0A4252
	s_cselect_b32 s21, s36, s60                                // 000000007660: 85153C24
	s_mov_b64 exec, s[20:21]                                   // 000000007664: BEFE0114
	buffer_store_dword v60, v6, s[8:11], 0 offen               // 000000007668: E0701000 80023C06
	s_mov_b64 exec, s[36:37]                                   // 000000007670: BEFE0124
	v_mov_b32_e32 v6, v51                                      // 000000007674: 7E0C0333
	s_mov_b64 s[60:61], 0                                      // 000000007678: BEBC0180
	v_readlane_b32 s82, v3, 10                                 // 00000000767C: D2890052 00011503
	s_and_b32 s82, s82, 0xffffff                               // 000000007684: 8652FF52 00FFFFFF
	s_cmp_lt_u32 s82, s66                                      // 00000000768C: BF0A4252
	s_cselect_b32 s20, s36, s60                                // 000000007690: 85143C24
	v_readlane_b32 s82, v3, 11                                 // 000000007694: D2890052 00011703
	s_and_b32 s82, s82, 0xffffff                               // 00000000769C: 8652FF52 00FFFFFF
	s_cmp_lt_u32 s82, s66                                      // 0000000076A4: BF0A4252
	s_cselect_b32 s21, s36, s60                                // 0000000076A8: 85153C24
	s_mov_b64 exec, s[20:21]                                   // 0000000076AC: BEFE0114
	buffer_store_dword v61, v6, s[8:11], 0 offen               // 0000000076B0: E0701000 80023D06
	s_mov_b64 exec, s[36:37]                                   // 0000000076B8: BEFE0124
	v_mov_b32_e32 v6, v52                                      // 0000000076BC: 7E0C0334
	s_mov_b64 s[60:61], 0                                      // 0000000076C0: BEBC0180
	v_readlane_b32 s82, v3, 12                                 // 0000000076C4: D2890052 00011903
	s_and_b32 s82, s82, 0xffffff                               // 0000000076CC: 8652FF52 00FFFFFF
	s_cmp_lt_u32 s82, s66                                      // 0000000076D4: BF0A4252
	s_cselect_b32 s20, s36, s60                                // 0000000076D8: 85143C24
	v_readlane_b32 s82, v3, 13                                 // 0000000076DC: D2890052 00011B03
	s_and_b32 s82, s82, 0xffffff                               // 0000000076E4: 8652FF52 00FFFFFF
	s_cmp_lt_u32 s82, s66                                      // 0000000076EC: BF0A4252
	s_cselect_b32 s21, s36, s60                                // 0000000076F0: 85153C24
	s_mov_b64 exec, s[20:21]                                   // 0000000076F4: BEFE0114
	buffer_store_dword v62, v6, s[8:11], 0 offen               // 0000000076F8: E0701000 80023E06
	s_mov_b64 exec, s[36:37]                                   // 000000007700: BEFE0124
	v_mov_b32_e32 v6, v53                                      // 000000007704: 7E0C0335
	s_mov_b64 s[60:61], 0                                      // 000000007708: BEBC0180
	v_readlane_b32 s82, v3, 14                                 // 00000000770C: D2890052 00011D03
	s_and_b32 s82, s82, 0xffffff                               // 000000007714: 8652FF52 00FFFFFF
	s_cmp_lt_u32 s82, s66                                      // 00000000771C: BF0A4252
	s_cselect_b32 s20, s36, s60                                // 000000007720: 85143C24
	v_readlane_b32 s82, v3, 15                                 // 000000007724: D2890052 00011F03
	s_and_b32 s82, s82, 0xffffff                               // 00000000772C: 8652FF52 00FFFFFF
	s_cmp_lt_u32 s82, s66                                      // 000000007734: BF0A4252
	s_cselect_b32 s21, s36, s60                                // 000000007738: 85153C24
	s_mov_b64 exec, s[20:21]                                   // 00000000773C: BEFE0114
	buffer_store_dword v63, v6, s[8:11], 0 offen               // 000000007740: E0701000 80023F06
	s_mov_b64 exec, s[36:37]                                   // 000000007748: BEFE0124
	s_branch label_16D1                                        // 00000000774C: BF82037A

0000000000007750 <label_1357>:
	ds_write_b64 v20, v[56:57]                                 // 000000007750: D89A0000 00003814
	ds_write_b64 v20, v[60:61] offset:2176                     // 000000007758: D89A0880 00003C14
	ds_write_b64 v20, v[64:65] offset:4352                     // 000000007760: D89A1100 00004014
	ds_write_b64 v20, v[68:69] offset:6528                     // 000000007768: D89A1980 00004414
	v_lshrrev_b32_e32 v4, 5, v0                                // 000000007770: 20080085
	v_xor_b32_e32 v5, 1, v4                                    // 000000007774: 2A0A0881
	s_mul_i32 s60, s65, 2                                      // 000000007778: 923C8241
	s_cmp_eq_u32 s88, 0                                        // 00000000777C: BF068058
	s_cselect_b32 s61, 1, 4                                    // 000000007780: 853D8481
	s_mul_i32 s60, s61, s60                                    // 000000007784: 923C3C3D
	v_readlane_b32 s82, v3, 0                                  // 000000007788: D2890052 00010103
	s_lshr_b32 s61, s82, 24                                    // 000000007790: 8F3D9852
	s_and_b32 s82, s82, 0xffffff                               // 000000007794: 8652FF52 00FFFFFF
	s_mul_i32 s82, s82, s71                                    // 00000000779C: 92524752
	s_mul_i32 s61, s60, s61                                    // 0000000077A0: 923D3D3C
	s_add_u32 s82, s82, s61                                    // 0000000077A4: 80523D52
	v_mul_lo_u32 v6, v5, s82                                   // 0000000077A8: D2850006 0000A505
	v_readlane_b32 s82, v3, 1                                  // 0000000077B0: D2890052 00010303
	s_lshr_b32 s61, s82, 24                                    // 0000000077B8: 8F3D9852
	s_and_b32 s82, s82, 0xffffff                               // 0000000077BC: 8652FF52 00FFFFFF
	s_mul_i32 s82, s82, s71                                    // 0000000077C4: 92524752
	s_mul_i32 s61, s60, s61                                    // 0000000077C8: 923D3D3C
	s_add_u32 s82, s82, s61                                    // 0000000077CC: 80523D52
	v_mul_lo_u32 v7, v4, s82                                   // 0000000077D0: D2850007 0000A504
	v_add_u32_e32 v46, v6, v7                                  // 0000000077D8: 685C0F06
	v_readlane_b32 s82, v3, 2                                  // 0000000077DC: D2890052 00010503
	s_lshr_b32 s61, s82, 24                                    // 0000000077E4: 8F3D9852
	s_and_b32 s82, s82, 0xffffff                               // 0000000077E8: 8652FF52 00FFFFFF
	s_mul_i32 s82, s82, s71                                    // 0000000077F0: 92524752
	s_mul_i32 s61, s60, s61                                    // 0000000077F4: 923D3D3C
	s_add_u32 s82, s82, s61                                    // 0000000077F8: 80523D52
	v_mul_lo_u32 v6, v5, s82                                   // 0000000077FC: D2850006 0000A505
	v_readlane_b32 s82, v3, 3                                  // 000000007804: D2890052 00010703
	s_lshr_b32 s61, s82, 24                                    // 00000000780C: 8F3D9852
	s_and_b32 s82, s82, 0xffffff                               // 000000007810: 8652FF52 00FFFFFF
	s_mul_i32 s82, s82, s71                                    // 000000007818: 92524752
	s_mul_i32 s61, s60, s61                                    // 00000000781C: 923D3D3C
	s_add_u32 s82, s82, s61                                    // 000000007820: 80523D52
	v_mul_lo_u32 v7, v4, s82                                   // 000000007824: D2850007 0000A504
	v_add_u32_e32 v47, v6, v7                                  // 00000000782C: 685E0F06
	v_readlane_b32 s82, v3, 4                                  // 000000007830: D2890052 00010903
	s_lshr_b32 s61, s82, 24                                    // 000000007838: 8F3D9852
	s_and_b32 s82, s82, 0xffffff                               // 00000000783C: 8652FF52 00FFFFFF
	s_mul_i32 s82, s82, s71                                    // 000000007844: 92524752
	s_mul_i32 s61, s60, s61                                    // 000000007848: 923D3D3C
	s_add_u32 s82, s82, s61                                    // 00000000784C: 80523D52
	v_mul_lo_u32 v6, v5, s82                                   // 000000007850: D2850006 0000A505
	v_readlane_b32 s82, v3, 5                                  // 000000007858: D2890052 00010B03
	s_lshr_b32 s61, s82, 24                                    // 000000007860: 8F3D9852
	s_and_b32 s82, s82, 0xffffff                               // 000000007864: 8652FF52 00FFFFFF
	s_mul_i32 s82, s82, s71                                    // 00000000786C: 92524752
	s_mul_i32 s61, s60, s61                                    // 000000007870: 923D3D3C
	s_add_u32 s82, s82, s61                                    // 000000007874: 80523D52
	v_mul_lo_u32 v7, v4, s82                                   // 000000007878: D2850007 0000A504
	v_add_u32_e32 v48, v6, v7                                  // 000000007880: 68600F06
	v_readlane_b32 s82, v3, 6                                  // 000000007884: D2890052 00010D03
	s_lshr_b32 s61, s82, 24                                    // 00000000788C: 8F3D9852
	s_and_b32 s82, s82, 0xffffff                               // 000000007890: 8652FF52 00FFFFFF
	s_mul_i32 s82, s82, s71                                    // 000000007898: 92524752
	s_mul_i32 s61, s60, s61                                    // 00000000789C: 923D3D3C
	s_add_u32 s82, s82, s61                                    // 0000000078A0: 80523D52
	v_mul_lo_u32 v6, v5, s82                                   // 0000000078A4: D2850006 0000A505
	v_readlane_b32 s82, v3, 7                                  // 0000000078AC: D2890052 00010F03
	s_lshr_b32 s61, s82, 24                                    // 0000000078B4: 8F3D9852
	s_and_b32 s82, s82, 0xffffff                               // 0000000078B8: 8652FF52 00FFFFFF
	s_mul_i32 s82, s82, s71                                    // 0000000078C0: 92524752
	s_mul_i32 s61, s60, s61                                    // 0000000078C4: 923D3D3C
	s_add_u32 s82, s82, s61                                    // 0000000078C8: 80523D52
	v_mul_lo_u32 v7, v4, s82                                   // 0000000078CC: D2850007 0000A504
	v_add_u32_e32 v49, v6, v7                                  // 0000000078D4: 68620F06
	v_readlane_b32 s82, v3, 8                                  // 0000000078D8: D2890052 00011103
	s_lshr_b32 s61, s82, 24                                    // 0000000078E0: 8F3D9852
	s_and_b32 s82, s82, 0xffffff                               // 0000000078E4: 8652FF52 00FFFFFF
	s_mul_i32 s82, s82, s71                                    // 0000000078EC: 92524752
	s_mul_i32 s61, s60, s61                                    // 0000000078F0: 923D3D3C
	s_add_u32 s82, s82, s61                                    // 0000000078F4: 80523D52
	v_mul_lo_u32 v6, v5, s82                                   // 0000000078F8: D2850006 0000A505
	v_readlane_b32 s82, v3, 9                                  // 000000007900: D2890052 00011303
	s_lshr_b32 s61, s82, 24                                    // 000000007908: 8F3D9852
	s_and_b32 s82, s82, 0xffffff                               // 00000000790C: 8652FF52 00FFFFFF
	s_mul_i32 s82, s82, s71                                    // 000000007914: 92524752
	s_mul_i32 s61, s60, s61                                    // 000000007918: 923D3D3C
	s_add_u32 s82, s82, s61                                    // 00000000791C: 80523D52
	v_mul_lo_u32 v7, v4, s82                                   // 000000007920: D2850007 0000A504
	v_add_u32_e32 v50, v6, v7                                  // 000000007928: 68640F06
	v_readlane_b32 s82, v3, 10                                 // 00000000792C: D2890052 00011503
	s_lshr_b32 s61, s82, 24                                    // 000000007934: 8F3D9852
	s_and_b32 s82, s82, 0xffffff                               // 000000007938: 8652FF52 00FFFFFF
	s_mul_i32 s82, s82, s71                                    // 000000007940: 92524752
	s_mul_i32 s61, s60, s61                                    // 000000007944: 923D3D3C
	s_add_u32 s82, s82, s61                                    // 000000007948: 80523D52
	v_mul_lo_u32 v6, v5, s82                                   // 00000000794C: D2850006 0000A505
	v_readlane_b32 s82, v3, 11                                 // 000000007954: D2890052 00011703
	s_lshr_b32 s61, s82, 24                                    // 00000000795C: 8F3D9852
	s_and_b32 s82, s82, 0xffffff                               // 000000007960: 8652FF52 00FFFFFF
	s_mul_i32 s82, s82, s71                                    // 000000007968: 92524752
	s_mul_i32 s61, s60, s61                                    // 00000000796C: 923D3D3C
	s_add_u32 s82, s82, s61                                    // 000000007970: 80523D52
	v_mul_lo_u32 v7, v4, s82                                   // 000000007974: D2850007 0000A504
	v_add_u32_e32 v51, v6, v7                                  // 00000000797C: 68660F06
	v_readlane_b32 s82, v3, 12                                 // 000000007980: D2890052 00011903
	s_lshr_b32 s61, s82, 24                                    // 000000007988: 8F3D9852
	s_and_b32 s82, s82, 0xffffff                               // 00000000798C: 8652FF52 00FFFFFF
	s_mul_i32 s82, s82, s71                                    // 000000007994: 92524752
	s_mul_i32 s61, s60, s61                                    // 000000007998: 923D3D3C
	s_add_u32 s82, s82, s61                                    // 00000000799C: 80523D52
	v_mul_lo_u32 v6, v5, s82                                   // 0000000079A0: D2850006 0000A505
	v_readlane_b32 s82, v3, 13                                 // 0000000079A8: D2890052 00011B03
	s_lshr_b32 s61, s82, 24                                    // 0000000079B0: 8F3D9852
	s_and_b32 s82, s82, 0xffffff                               // 0000000079B4: 8652FF52 00FFFFFF
	s_mul_i32 s82, s82, s71                                    // 0000000079BC: 92524752
	s_mul_i32 s61, s60, s61                                    // 0000000079C0: 923D3D3C
	s_add_u32 s82, s82, s61                                    // 0000000079C4: 80523D52
	v_mul_lo_u32 v7, v4, s82                                   // 0000000079C8: D2850007 0000A504
	v_add_u32_e32 v52, v6, v7                                  // 0000000079D0: 68680F06
	v_readlane_b32 s82, v3, 14                                 // 0000000079D4: D2890052 00011D03
	s_lshr_b32 s61, s82, 24                                    // 0000000079DC: 8F3D9852
	s_and_b32 s82, s82, 0xffffff                               // 0000000079E0: 8652FF52 00FFFFFF
	s_mul_i32 s82, s82, s71                                    // 0000000079E8: 92524752
	s_mul_i32 s61, s60, s61                                    // 0000000079EC: 923D3D3C
	s_add_u32 s82, s82, s61                                    // 0000000079F0: 80523D52
	v_mul_lo_u32 v6, v5, s82                                   // 0000000079F4: D2850006 0000A505
	v_readlane_b32 s82, v3, 15                                 // 0000000079FC: D2890052 00011F03
	s_lshr_b32 s61, s82, 24                                    // 000000007A04: 8F3D9852
	s_and_b32 s82, s82, 0xffffff                               // 000000007A08: 8652FF52 00FFFFFF
	s_mul_i32 s82, s82, s71                                    // 000000007A10: 92524752
	s_mul_i32 s61, s60, s61                                    // 000000007A14: 923D3D3C
	s_add_u32 s82, s82, s61                                    // 000000007A18: 80523D52
	v_mul_lo_u32 v7, v4, s82                                   // 000000007A1C: D2850007 0000A504
	v_add_u32_e32 v53, v6, v7                                  // 000000007A24: 686A0F06
	v_and_b32_e32 v4, 31, v0                                   // 000000007A28: 2608009F
	v_lshrrev_b32_e32 v4, 1, v4                                // 000000007A2C: 20080881
	s_cmp_eq_u32 s88, 0                                        // 000000007A30: BF068058
	s_cselect_b32 s61, 2, 4                                    // 000000007A34: 853D8482
	v_mul_lo_u32 v4, v4, s61                                   // 000000007A38: D2850004 00007B04
	v_and_b32_e64 v5, v0, 1                                    // 000000007A40: D1130005 00010300
	v_add_u32_e32 v4, v4, v5                                   // 000000007A48: 68080B04
	v_lshlrev_b32_e32 v4, 2, v4                                // 000000007A4C: 24080882
	v_add_u32_e32 v46, v46, v4                                 // 000000007A50: 685C092E
	v_add_u32_e32 v47, v47, v4                                 // 000000007A54: 685E092F
	v_add_u32_e32 v48, v48, v4                                 // 000000007A58: 68600930
	v_add_u32_e32 v49, v49, v4                                 // 000000007A5C: 68620931
	v_add_u32_e32 v50, v50, v4                                 // 000000007A60: 68640932
	v_add_u32_e32 v51, v51, v4                                 // 000000007A64: 68660933
	v_add_u32_e32 v52, v52, v4                                 // 000000007A68: 68680934
	v_add_u32_e32 v53, v53, v4                                 // 000000007A6C: 686A0935
	s_waitcnt lgkmcnt(0)                                       // 000000007A70: BF8CC07F
	s_barrier                                                  // 000000007A74: BF8A0000
	ds_read_b32 v56, v21                                       // 000000007A78: D86C0000 38000015
	ds_read_b32 v57, v21 offset:64                             // 000000007A80: D86C0040 39000015
	ds_read_b32 v60, v21 offset:2176                           // 000000007A88: D86C0880 3C000015
	ds_read_b32 v61, v21 offset:2240                           // 000000007A90: D86C08C0 3D000015
	ds_read_b32 v64, v21 offset:4352                           // 000000007A98: D86C1100 40000015
	ds_read_b32 v65, v21 offset:4416                           // 000000007AA0: D86C1140 41000015
	ds_read_b32 v68, v21 offset:6528                           // 000000007AA8: D86C1980 44000015
	ds_read_b32 v69, v21 offset:6592                           // 000000007AB0: D86C19C0 45000015
	s_waitcnt lgkmcnt(0)                                       // 000000007AB8: BF8CC07F
	s_mov_b32 s36, -1                                          // 000000007ABC: BEA400C1
	s_mov_b32 s37, -1                                          // 000000007AC0: BEA500C1
	v_mov_b32_e32 v7, 0                                        // 000000007AC4: 7E0E0280
	s_mov_b64 exec, s[36:37]                                   // 000000007AC8: BEFE0124
	v_mov_b32_e32 v6, v46                                      // 000000007ACC: 7E0C032E
	s_mov_b64 s[60:61], 0                                      // 000000007AD0: BEBC0180
	v_readlane_b32 s82, v3, 0                                  // 000000007AD4: D2890052 00010103
	s_and_b32 s82, s82, 0xffffff                               // 000000007ADC: 8652FF52 00FFFFFF
	s_cmp_lt_u32 s82, s66                                      // 000000007AE4: BF0A4252
	s_cselect_b32 s20, s36, s60                                // 000000007AE8: 85143C24
	v_readlane_b32 s82, v3, 1                                  // 000000007AEC: D2890052 00010303
	s_and_b32 s82, s82, 0xffffff                               // 000000007AF4: 8652FF52 00FFFFFF
	s_cmp_lt_u32 s82, s66                                      // 000000007AFC: BF0A4252
	s_cselect_b32 s21, s36, s60                                // 000000007B00: 85153C24
	s_mov_b64 exec, s[20:21]                                   // 000000007B04: BEFE0114
	global_atomic_add_f32 v6, v56, s[8:9]                      // 000000007B08: DD348000 00083806
	s_mov_b64 exec, s[36:37]                                   // 000000007B10: BEFE0124
	v_mov_b32_e32 v6, v47                                      // 000000007B14: 7E0C032F
	s_mov_b64 s[60:61], 0                                      // 000000007B18: BEBC0180
	v_readlane_b32 s82, v3, 2                                  // 000000007B1C: D2890052 00010503
	s_and_b32 s82, s82, 0xffffff                               // 000000007B24: 8652FF52 00FFFFFF
	s_cmp_lt_u32 s82, s66                                      // 000000007B2C: BF0A4252
	s_cselect_b32 s20, s36, s60                                // 000000007B30: 85143C24
	v_readlane_b32 s82, v3, 3                                  // 000000007B34: D2890052 00010703
	s_and_b32 s82, s82, 0xffffff                               // 000000007B3C: 8652FF52 00FFFFFF
	s_cmp_lt_u32 s82, s66                                      // 000000007B44: BF0A4252
	s_cselect_b32 s21, s36, s60                                // 000000007B48: 85153C24
	s_mov_b64 exec, s[20:21]                                   // 000000007B4C: BEFE0114
	global_atomic_add_f32 v6, v57, s[8:9]                      // 000000007B50: DD348000 00083906
	s_mov_b64 exec, s[36:37]                                   // 000000007B58: BEFE0124
	v_mov_b32_e32 v6, v48                                      // 000000007B5C: 7E0C0330
	s_mov_b64 s[60:61], 0                                      // 000000007B60: BEBC0180
	v_readlane_b32 s82, v3, 4                                  // 000000007B64: D2890052 00010903
	s_and_b32 s82, s82, 0xffffff                               // 000000007B6C: 8652FF52 00FFFFFF
	s_cmp_lt_u32 s82, s66                                      // 000000007B74: BF0A4252
	s_cselect_b32 s20, s36, s60                                // 000000007B78: 85143C24
	v_readlane_b32 s82, v3, 5                                  // 000000007B7C: D2890052 00010B03
	s_and_b32 s82, s82, 0xffffff                               // 000000007B84: 8652FF52 00FFFFFF
	s_cmp_lt_u32 s82, s66                                      // 000000007B8C: BF0A4252
	s_cselect_b32 s21, s36, s60                                // 000000007B90: 85153C24
	s_mov_b64 exec, s[20:21]                                   // 000000007B94: BEFE0114
	global_atomic_add_f32 v6, v60, s[8:9]                      // 000000007B98: DD348000 00083C06
	s_mov_b64 exec, s[36:37]                                   // 000000007BA0: BEFE0124
	v_mov_b32_e32 v6, v49                                      // 000000007BA4: 7E0C0331
	s_mov_b64 s[60:61], 0                                      // 000000007BA8: BEBC0180
	v_readlane_b32 s82, v3, 6                                  // 000000007BAC: D2890052 00010D03
	s_and_b32 s82, s82, 0xffffff                               // 000000007BB4: 8652FF52 00FFFFFF
	s_cmp_lt_u32 s82, s66                                      // 000000007BBC: BF0A4252
	s_cselect_b32 s20, s36, s60                                // 000000007BC0: 85143C24
	v_readlane_b32 s82, v3, 7                                  // 000000007BC4: D2890052 00010F03
	s_and_b32 s82, s82, 0xffffff                               // 000000007BCC: 8652FF52 00FFFFFF
	s_cmp_lt_u32 s82, s66                                      // 000000007BD4: BF0A4252
	s_cselect_b32 s21, s36, s60                                // 000000007BD8: 85153C24
	s_mov_b64 exec, s[20:21]                                   // 000000007BDC: BEFE0114
	global_atomic_add_f32 v6, v61, s[8:9]                      // 000000007BE0: DD348000 00083D06
	s_mov_b64 exec, s[36:37]                                   // 000000007BE8: BEFE0124
	v_mov_b32_e32 v6, v50                                      // 000000007BEC: 7E0C0332
	s_mov_b64 s[60:61], 0                                      // 000000007BF0: BEBC0180
	v_readlane_b32 s82, v3, 8                                  // 000000007BF4: D2890052 00011103
	s_and_b32 s82, s82, 0xffffff                               // 000000007BFC: 8652FF52 00FFFFFF
	s_cmp_lt_u32 s82, s66                                      // 000000007C04: BF0A4252
	s_cselect_b32 s20, s36, s60                                // 000000007C08: 85143C24
	v_readlane_b32 s82, v3, 9                                  // 000000007C0C: D2890052 00011303
	s_and_b32 s82, s82, 0xffffff                               // 000000007C14: 8652FF52 00FFFFFF
	s_cmp_lt_u32 s82, s66                                      // 000000007C1C: BF0A4252
	s_cselect_b32 s21, s36, s60                                // 000000007C20: 85153C24
	s_mov_b64 exec, s[20:21]                                   // 000000007C24: BEFE0114
	global_atomic_add_f32 v6, v64, s[8:9]                      // 000000007C28: DD348000 00084006
	s_mov_b64 exec, s[36:37]                                   // 000000007C30: BEFE0124
	v_mov_b32_e32 v6, v51                                      // 000000007C34: 7E0C0333
	s_mov_b64 s[60:61], 0                                      // 000000007C38: BEBC0180
	v_readlane_b32 s82, v3, 10                                 // 000000007C3C: D2890052 00011503
	s_and_b32 s82, s82, 0xffffff                               // 000000007C44: 8652FF52 00FFFFFF
	s_cmp_lt_u32 s82, s66                                      // 000000007C4C: BF0A4252
	s_cselect_b32 s20, s36, s60                                // 000000007C50: 85143C24
	v_readlane_b32 s82, v3, 11                                 // 000000007C54: D2890052 00011703
	s_and_b32 s82, s82, 0xffffff                               // 000000007C5C: 8652FF52 00FFFFFF
	s_cmp_lt_u32 s82, s66                                      // 000000007C64: BF0A4252
	s_cselect_b32 s21, s36, s60                                // 000000007C68: 85153C24
	s_mov_b64 exec, s[20:21]                                   // 000000007C6C: BEFE0114
	global_atomic_add_f32 v6, v65, s[8:9]                      // 000000007C70: DD348000 00084106
	s_mov_b64 exec, s[36:37]                                   // 000000007C78: BEFE0124
	v_mov_b32_e32 v6, v52                                      // 000000007C7C: 7E0C0334
	s_mov_b64 s[60:61], 0                                      // 000000007C80: BEBC0180
	v_readlane_b32 s82, v3, 12                                 // 000000007C84: D2890052 00011903
	s_and_b32 s82, s82, 0xffffff                               // 000000007C8C: 8652FF52 00FFFFFF
	s_cmp_lt_u32 s82, s66                                      // 000000007C94: BF0A4252
	s_cselect_b32 s20, s36, s60                                // 000000007C98: 85143C24
	v_readlane_b32 s82, v3, 13                                 // 000000007C9C: D2890052 00011B03
	s_and_b32 s82, s82, 0xffffff                               // 000000007CA4: 8652FF52 00FFFFFF
	s_cmp_lt_u32 s82, s66                                      // 000000007CAC: BF0A4252
	s_cselect_b32 s21, s36, s60                                // 000000007CB0: 85153C24
	s_mov_b64 exec, s[20:21]                                   // 000000007CB4: BEFE0114
	global_atomic_add_f32 v6, v68, s[8:9]                      // 000000007CB8: DD348000 00084406
	s_mov_b64 exec, s[36:37]                                   // 000000007CC0: BEFE0124
	v_mov_b32_e32 v6, v53                                      // 000000007CC4: 7E0C0335
	s_mov_b64 s[60:61], 0                                      // 000000007CC8: BEBC0180
	v_readlane_b32 s82, v3, 14                                 // 000000007CCC: D2890052 00011D03
	s_and_b32 s82, s82, 0xffffff                               // 000000007CD4: 8652FF52 00FFFFFF
	s_cmp_lt_u32 s82, s66                                      // 000000007CDC: BF0A4252
	s_cselect_b32 s20, s36, s60                                // 000000007CE0: 85143C24
	v_readlane_b32 s82, v3, 15                                 // 000000007CE4: D2890052 00011F03
	s_and_b32 s82, s82, 0xffffff                               // 000000007CEC: 8652FF52 00FFFFFF
	s_cmp_lt_u32 s82, s66                                      // 000000007CF4: BF0A4252
	s_cselect_b32 s21, s36, s60                                // 000000007CF8: 85153C24
	s_mov_b64 exec, s[20:21]                                   // 000000007CFC: BEFE0114
	global_atomic_add_f32 v6, v69, s[8:9]                      // 000000007D00: DD348000 00084506
	s_mov_b64 exec, s[36:37]                                   // 000000007D08: BEFE0124
	ds_write_b64 v20, v[58:59]                                 // 000000007D0C: D89A0000 00003A14
	ds_write_b64 v20, v[62:63] offset:2176                     // 000000007D14: D89A0880 00003E14
	ds_write_b64 v20, v[66:67] offset:4352                     // 000000007D1C: D89A1100 00004214
	ds_write_b64 v20, v[70:71] offset:6528                     // 000000007D24: D89A1980 00004614
	s_waitcnt lgkmcnt(0)                                       // 000000007D2C: BF8CC07F
	s_barrier                                                  // 000000007D30: BF8A0000
	ds_read_b32 v58, v21                                       // 000000007D34: D86C0000 3A000015
	ds_read_b32 v59, v21 offset:64                             // 000000007D3C: D86C0040 3B000015
	ds_read_b32 v62, v21 offset:2176                           // 000000007D44: D86C0880 3E000015
	ds_read_b32 v63, v21 offset:2240                           // 000000007D4C: D86C08C0 3F000015
	ds_read_b32 v66, v21 offset:4352                           // 000000007D54: D86C1100 42000015
	ds_read_b32 v67, v21 offset:4416                           // 000000007D5C: D86C1140 43000015
	ds_read_b32 v70, v21 offset:6528                           // 000000007D64: D86C1980 46000015
	ds_read_b32 v71, v21 offset:6592                           // 000000007D6C: D86C19C0 47000015
	s_waitcnt lgkmcnt(0)                                       // 000000007D74: BF8CC07F
	v_mov_b32_e32 v7, 0                                        // 000000007D78: 7E0E0280
	s_mov_b64 exec, s[36:37]                                   // 000000007D7C: BEFE0124
	v_mov_b32_e32 v6, v46                                      // 000000007D80: 7E0C032E
	s_mov_b64 s[60:61], 0                                      // 000000007D84: BEBC0180
	v_readlane_b32 s82, v3, 0                                  // 000000007D88: D2890052 00010103
	s_and_b32 s82, s82, 0xffffff                               // 000000007D90: 8652FF52 00FFFFFF
	s_cmp_lt_u32 s82, s66                                      // 000000007D98: BF0A4252
	s_cselect_b32 s20, s36, s60                                // 000000007D9C: 85143C24
	v_readlane_b32 s82, v3, 1                                  // 000000007DA0: D2890052 00010303
	s_and_b32 s82, s82, 0xffffff                               // 000000007DA8: 8652FF52 00FFFFFF
	s_cmp_lt_u32 s82, s66                                      // 000000007DB0: BF0A4252
	s_cselect_b32 s21, s36, s60                                // 000000007DB4: 85153C24
	s_mov_b64 exec, s[20:21]                                   // 000000007DB8: BEFE0114
	global_atomic_add_f32 v6, v58, s[8:9] offset:8             // 000000007DBC: DD348008 00083A06
	s_mov_b64 exec, s[36:37]                                   // 000000007DC4: BEFE0124
	v_mov_b32_e32 v6, v47                                      // 000000007DC8: 7E0C032F
	s_mov_b64 s[60:61], 0                                      // 000000007DCC: BEBC0180
	v_readlane_b32 s82, v3, 2                                  // 000000007DD0: D2890052 00010503
	s_and_b32 s82, s82, 0xffffff                               // 000000007DD8: 8652FF52 00FFFFFF
	s_cmp_lt_u32 s82, s66                                      // 000000007DE0: BF0A4252
	s_cselect_b32 s20, s36, s60                                // 000000007DE4: 85143C24
	v_readlane_b32 s82, v3, 3                                  // 000000007DE8: D2890052 00010703
	s_and_b32 s82, s82, 0xffffff                               // 000000007DF0: 8652FF52 00FFFFFF
	s_cmp_lt_u32 s82, s66                                      // 000000007DF8: BF0A4252
	s_cselect_b32 s21, s36, s60                                // 000000007DFC: 85153C24
	s_mov_b64 exec, s[20:21]                                   // 000000007E00: BEFE0114
	global_atomic_add_f32 v6, v59, s[8:9] offset:8             // 000000007E04: DD348008 00083B06
	s_mov_b64 exec, s[36:37]                                   // 000000007E0C: BEFE0124
	v_mov_b32_e32 v6, v48                                      // 000000007E10: 7E0C0330
	s_mov_b64 s[60:61], 0                                      // 000000007E14: BEBC0180
	v_readlane_b32 s82, v3, 4                                  // 000000007E18: D2890052 00010903
	s_and_b32 s82, s82, 0xffffff                               // 000000007E20: 8652FF52 00FFFFFF
	s_cmp_lt_u32 s82, s66                                      // 000000007E28: BF0A4252
	s_cselect_b32 s20, s36, s60                                // 000000007E2C: 85143C24
	v_readlane_b32 s82, v3, 5                                  // 000000007E30: D2890052 00010B03
	s_and_b32 s82, s82, 0xffffff                               // 000000007E38: 8652FF52 00FFFFFF
	s_cmp_lt_u32 s82, s66                                      // 000000007E40: BF0A4252
	s_cselect_b32 s21, s36, s60                                // 000000007E44: 85153C24
	s_mov_b64 exec, s[20:21]                                   // 000000007E48: BEFE0114
	global_atomic_add_f32 v6, v62, s[8:9] offset:8             // 000000007E4C: DD348008 00083E06
	s_mov_b64 exec, s[36:37]                                   // 000000007E54: BEFE0124
	v_mov_b32_e32 v6, v49                                      // 000000007E58: 7E0C0331
	s_mov_b64 s[60:61], 0                                      // 000000007E5C: BEBC0180
	v_readlane_b32 s82, v3, 6                                  // 000000007E60: D2890052 00010D03
	s_and_b32 s82, s82, 0xffffff                               // 000000007E68: 8652FF52 00FFFFFF
	s_cmp_lt_u32 s82, s66                                      // 000000007E70: BF0A4252
	s_cselect_b32 s20, s36, s60                                // 000000007E74: 85143C24
	v_readlane_b32 s82, v3, 7                                  // 000000007E78: D2890052 00010F03
	s_and_b32 s82, s82, 0xffffff                               // 000000007E80: 8652FF52 00FFFFFF
	s_cmp_lt_u32 s82, s66                                      // 000000007E88: BF0A4252
	s_cselect_b32 s21, s36, s60                                // 000000007E8C: 85153C24
	s_mov_b64 exec, s[20:21]                                   // 000000007E90: BEFE0114
	global_atomic_add_f32 v6, v63, s[8:9] offset:8             // 000000007E94: DD348008 00083F06
	s_mov_b64 exec, s[36:37]                                   // 000000007E9C: BEFE0124
	v_mov_b32_e32 v6, v50                                      // 000000007EA0: 7E0C0332
	s_mov_b64 s[60:61], 0                                      // 000000007EA4: BEBC0180
	v_readlane_b32 s82, v3, 8                                  // 000000007EA8: D2890052 00011103
	s_and_b32 s82, s82, 0xffffff                               // 000000007EB0: 8652FF52 00FFFFFF
	s_cmp_lt_u32 s82, s66                                      // 000000007EB8: BF0A4252
	s_cselect_b32 s20, s36, s60                                // 000000007EBC: 85143C24
	v_readlane_b32 s82, v3, 9                                  // 000000007EC0: D2890052 00011303
	s_and_b32 s82, s82, 0xffffff                               // 000000007EC8: 8652FF52 00FFFFFF
	s_cmp_lt_u32 s82, s66                                      // 000000007ED0: BF0A4252
	s_cselect_b32 s21, s36, s60                                // 000000007ED4: 85153C24
	s_mov_b64 exec, s[20:21]                                   // 000000007ED8: BEFE0114
	global_atomic_add_f32 v6, v66, s[8:9] offset:8             // 000000007EDC: DD348008 00084206
	s_mov_b64 exec, s[36:37]                                   // 000000007EE4: BEFE0124
	v_mov_b32_e32 v6, v51                                      // 000000007EE8: 7E0C0333
	s_mov_b64 s[60:61], 0                                      // 000000007EEC: BEBC0180
	v_readlane_b32 s82, v3, 10                                 // 000000007EF0: D2890052 00011503
	s_and_b32 s82, s82, 0xffffff                               // 000000007EF8: 8652FF52 00FFFFFF
	s_cmp_lt_u32 s82, s66                                      // 000000007F00: BF0A4252
	s_cselect_b32 s20, s36, s60                                // 000000007F04: 85143C24
	v_readlane_b32 s82, v3, 11                                 // 000000007F08: D2890052 00011703
	s_and_b32 s82, s82, 0xffffff                               // 000000007F10: 8652FF52 00FFFFFF
	s_cmp_lt_u32 s82, s66                                      // 000000007F18: BF0A4252
	s_cselect_b32 s21, s36, s60                                // 000000007F1C: 85153C24
	s_mov_b64 exec, s[20:21]                                   // 000000007F20: BEFE0114
	global_atomic_add_f32 v6, v67, s[8:9] offset:8             // 000000007F24: DD348008 00084306
	s_mov_b64 exec, s[36:37]                                   // 000000007F2C: BEFE0124
	v_mov_b32_e32 v6, v52                                      // 000000007F30: 7E0C0334
	s_mov_b64 s[60:61], 0                                      // 000000007F34: BEBC0180
	v_readlane_b32 s82, v3, 12                                 // 000000007F38: D2890052 00011903
	s_and_b32 s82, s82, 0xffffff                               // 000000007F40: 8652FF52 00FFFFFF
	s_cmp_lt_u32 s82, s66                                      // 000000007F48: BF0A4252
	s_cselect_b32 s20, s36, s60                                // 000000007F4C: 85143C24
	v_readlane_b32 s82, v3, 13                                 // 000000007F50: D2890052 00011B03
	s_and_b32 s82, s82, 0xffffff                               // 000000007F58: 8652FF52 00FFFFFF
	s_cmp_lt_u32 s82, s66                                      // 000000007F60: BF0A4252
	s_cselect_b32 s21, s36, s60                                // 000000007F64: 85153C24
	s_mov_b64 exec, s[20:21]                                   // 000000007F68: BEFE0114
	global_atomic_add_f32 v6, v70, s[8:9] offset:8             // 000000007F6C: DD348008 00084606
	s_mov_b64 exec, s[36:37]                                   // 000000007F74: BEFE0124
	v_mov_b32_e32 v6, v53                                      // 000000007F78: 7E0C0335
	s_mov_b64 s[60:61], 0                                      // 000000007F7C: BEBC0180
	v_readlane_b32 s82, v3, 14                                 // 000000007F80: D2890052 00011D03
	s_and_b32 s82, s82, 0xffffff                               // 000000007F88: 8652FF52 00FFFFFF
	s_cmp_lt_u32 s82, s66                                      // 000000007F90: BF0A4252
	s_cselect_b32 s20, s36, s60                                // 000000007F94: 85143C24
	v_readlane_b32 s82, v3, 15                                 // 000000007F98: D2890052 00011F03
	s_and_b32 s82, s82, 0xffffff                               // 000000007FA0: 8652FF52 00FFFFFF
	s_cmp_lt_u32 s82, s66                                      // 000000007FA8: BF0A4252
	s_cselect_b32 s21, s36, s60                                // 000000007FAC: 85153C24
	s_mov_b64 exec, s[20:21]                                   // 000000007FB0: BEFE0114
	global_atomic_add_f32 v6, v71, s[8:9] offset:8             // 000000007FB4: DD348008 00084706
	s_mov_b64 exec, s[36:37]                                   // 000000007FBC: BEFE0124
	ds_write_b64 v20, v[72:73]                                 // 000000007FC0: D89A0000 00004814
	ds_write_b64 v20, v[76:77] offset:2176                     // 000000007FC8: D89A0880 00004C14
	ds_write_b64 v20, v[80:81] offset:4352                     // 000000007FD0: D89A1100 00005014
	ds_write_b64 v20, v[84:85] offset:6528                     // 000000007FD8: D89A1980 00005414
	s_waitcnt lgkmcnt(0)                                       // 000000007FE0: BF8CC07F
	s_barrier                                                  // 000000007FE4: BF8A0000
	ds_read_b32 v72, v21                                       // 000000007FE8: D86C0000 48000015
	ds_read_b32 v73, v21 offset:64                             // 000000007FF0: D86C0040 49000015
	ds_read_b32 v76, v21 offset:2176                           // 000000007FF8: D86C0880 4C000015
	ds_read_b32 v77, v21 offset:2240                           // 000000008000: D86C08C0 4D000015
	ds_read_b32 v80, v21 offset:4352                           // 000000008008: D86C1100 50000015
	ds_read_b32 v81, v21 offset:4416                           // 000000008010: D86C1140 51000015
	ds_read_b32 v84, v21 offset:6528                           // 000000008018: D86C1980 54000015
	ds_read_b32 v85, v21 offset:6592                           // 000000008020: D86C19C0 55000015
	s_mul_i32 s60, s65, 4                                      // 000000008028: 923C8441
	s_add_u32 s8, s60, s8                                      // 00000000802C: 8008083C
	s_addc_u32 s9, 0, s9                                       // 000000008030: 82090980
	s_waitcnt lgkmcnt(0)                                       // 000000008034: BF8CC07F
	v_mov_b32_e32 v7, 0                                        // 000000008038: 7E0E0280
	s_mov_b64 exec, s[36:37]                                   // 00000000803C: BEFE0124
	v_mov_b32_e32 v6, v46                                      // 000000008040: 7E0C032E
	s_mov_b64 s[60:61], 0                                      // 000000008044: BEBC0180
	v_readlane_b32 s82, v3, 0                                  // 000000008048: D2890052 00010103
	s_and_b32 s82, s82, 0xffffff                               // 000000008050: 8652FF52 00FFFFFF
	s_cmp_lt_u32 s82, s66                                      // 000000008058: BF0A4252
	s_cselect_b32 s20, s36, s60                                // 00000000805C: 85143C24
	v_readlane_b32 s82, v3, 1                                  // 000000008060: D2890052 00010303
	s_and_b32 s82, s82, 0xffffff                               // 000000008068: 8652FF52 00FFFFFF
	s_cmp_lt_u32 s82, s66                                      // 000000008070: BF0A4252
	s_cselect_b32 s21, s36, s60                                // 000000008074: 85153C24
	s_mov_b64 exec, s[20:21]                                   // 000000008078: BEFE0114
	global_atomic_add_f32 v6, v72, s[8:9]                      // 00000000807C: DD348000 00084806
	s_mov_b64 exec, s[36:37]                                   // 000000008084: BEFE0124
	v_mov_b32_e32 v6, v47                                      // 000000008088: 7E0C032F
	s_mov_b64 s[60:61], 0                                      // 00000000808C: BEBC0180
	v_readlane_b32 s82, v3, 2                                  // 000000008090: D2890052 00010503
	s_and_b32 s82, s82, 0xffffff                               // 000000008098: 8652FF52 00FFFFFF
	s_cmp_lt_u32 s82, s66                                      // 0000000080A0: BF0A4252
	s_cselect_b32 s20, s36, s60                                // 0000000080A4: 85143C24
	v_readlane_b32 s82, v3, 3                                  // 0000000080A8: D2890052 00010703
	s_and_b32 s82, s82, 0xffffff                               // 0000000080B0: 8652FF52 00FFFFFF
	s_cmp_lt_u32 s82, s66                                      // 0000000080B8: BF0A4252
	s_cselect_b32 s21, s36, s60                                // 0000000080BC: 85153C24
	s_mov_b64 exec, s[20:21]                                   // 0000000080C0: BEFE0114
	global_atomic_add_f32 v6, v73, s[8:9]                      // 0000000080C4: DD348000 00084906
	s_mov_b64 exec, s[36:37]                                   // 0000000080CC: BEFE0124
	v_mov_b32_e32 v6, v48                                      // 0000000080D0: 7E0C0330
	s_mov_b64 s[60:61], 0                                      // 0000000080D4: BEBC0180
	v_readlane_b32 s82, v3, 4                                  // 0000000080D8: D2890052 00010903
	s_and_b32 s82, s82, 0xffffff                               // 0000000080E0: 8652FF52 00FFFFFF
	s_cmp_lt_u32 s82, s66                                      // 0000000080E8: BF0A4252
	s_cselect_b32 s20, s36, s60                                // 0000000080EC: 85143C24
	v_readlane_b32 s82, v3, 5                                  // 0000000080F0: D2890052 00010B03
	s_and_b32 s82, s82, 0xffffff                               // 0000000080F8: 8652FF52 00FFFFFF
	s_cmp_lt_u32 s82, s66                                      // 000000008100: BF0A4252
	s_cselect_b32 s21, s36, s60                                // 000000008104: 85153C24
	s_mov_b64 exec, s[20:21]                                   // 000000008108: BEFE0114
	global_atomic_add_f32 v6, v76, s[8:9]                      // 00000000810C: DD348000 00084C06
	s_mov_b64 exec, s[36:37]                                   // 000000008114: BEFE0124
	v_mov_b32_e32 v6, v49                                      // 000000008118: 7E0C0331
	s_mov_b64 s[60:61], 0                                      // 00000000811C: BEBC0180
	v_readlane_b32 s82, v3, 6                                  // 000000008120: D2890052 00010D03
	s_and_b32 s82, s82, 0xffffff                               // 000000008128: 8652FF52 00FFFFFF
	s_cmp_lt_u32 s82, s66                                      // 000000008130: BF0A4252
	s_cselect_b32 s20, s36, s60                                // 000000008134: 85143C24
	v_readlane_b32 s82, v3, 7                                  // 000000008138: D2890052 00010F03
	s_and_b32 s82, s82, 0xffffff                               // 000000008140: 8652FF52 00FFFFFF
	s_cmp_lt_u32 s82, s66                                      // 000000008148: BF0A4252
	s_cselect_b32 s21, s36, s60                                // 00000000814C: 85153C24
	s_mov_b64 exec, s[20:21]                                   // 000000008150: BEFE0114
	global_atomic_add_f32 v6, v77, s[8:9]                      // 000000008154: DD348000 00084D06
	s_mov_b64 exec, s[36:37]                                   // 00000000815C: BEFE0124
	v_mov_b32_e32 v6, v50                                      // 000000008160: 7E0C0332
	s_mov_b64 s[60:61], 0                                      // 000000008164: BEBC0180
	v_readlane_b32 s82, v3, 8                                  // 000000008168: D2890052 00011103
	s_and_b32 s82, s82, 0xffffff                               // 000000008170: 8652FF52 00FFFFFF
	s_cmp_lt_u32 s82, s66                                      // 000000008178: BF0A4252
	s_cselect_b32 s20, s36, s60                                // 00000000817C: 85143C24
	v_readlane_b32 s82, v3, 9                                  // 000000008180: D2890052 00011303
	s_and_b32 s82, s82, 0xffffff                               // 000000008188: 8652FF52 00FFFFFF
	s_cmp_lt_u32 s82, s66                                      // 000000008190: BF0A4252
	s_cselect_b32 s21, s36, s60                                // 000000008194: 85153C24
	s_mov_b64 exec, s[20:21]                                   // 000000008198: BEFE0114
	global_atomic_add_f32 v6, v80, s[8:9]                      // 00000000819C: DD348000 00085006
	s_mov_b64 exec, s[36:37]                                   // 0000000081A4: BEFE0124
	v_mov_b32_e32 v6, v51                                      // 0000000081A8: 7E0C0333
	s_mov_b64 s[60:61], 0                                      // 0000000081AC: BEBC0180
	v_readlane_b32 s82, v3, 10                                 // 0000000081B0: D2890052 00011503
	s_and_b32 s82, s82, 0xffffff                               // 0000000081B8: 8652FF52 00FFFFFF
	s_cmp_lt_u32 s82, s66                                      // 0000000081C0: BF0A4252
	s_cselect_b32 s20, s36, s60                                // 0000000081C4: 85143C24
	v_readlane_b32 s82, v3, 11                                 // 0000000081C8: D2890052 00011703
	s_and_b32 s82, s82, 0xffffff                               // 0000000081D0: 8652FF52 00FFFFFF
	s_cmp_lt_u32 s82, s66                                      // 0000000081D8: BF0A4252
	s_cselect_b32 s21, s36, s60                                // 0000000081DC: 85153C24
	s_mov_b64 exec, s[20:21]                                   // 0000000081E0: BEFE0114
	global_atomic_add_f32 v6, v81, s[8:9]                      // 0000000081E4: DD348000 00085106
	s_mov_b64 exec, s[36:37]                                   // 0000000081EC: BEFE0124
	v_mov_b32_e32 v6, v52                                      // 0000000081F0: 7E0C0334
	s_mov_b64 s[60:61], 0                                      // 0000000081F4: BEBC0180
	v_readlane_b32 s82, v3, 12                                 // 0000000081F8: D2890052 00011903
	s_and_b32 s82, s82, 0xffffff                               // 000000008200: 8652FF52 00FFFFFF
	s_cmp_lt_u32 s82, s66                                      // 000000008208: BF0A4252
	s_cselect_b32 s20, s36, s60                                // 00000000820C: 85143C24
	v_readlane_b32 s82, v3, 13                                 // 000000008210: D2890052 00011B03
	s_and_b32 s82, s82, 0xffffff                               // 000000008218: 8652FF52 00FFFFFF
	s_cmp_lt_u32 s82, s66                                      // 000000008220: BF0A4252
	s_cselect_b32 s21, s36, s60                                // 000000008224: 85153C24
	s_mov_b64 exec, s[20:21]                                   // 000000008228: BEFE0114
	global_atomic_add_f32 v6, v84, s[8:9]                      // 00000000822C: DD348000 00085406
	s_mov_b64 exec, s[36:37]                                   // 000000008234: BEFE0124
	v_mov_b32_e32 v6, v53                                      // 000000008238: 7E0C0335
	s_mov_b64 s[60:61], 0                                      // 00000000823C: BEBC0180
	v_readlane_b32 s82, v3, 14                                 // 000000008240: D2890052 00011D03
	s_and_b32 s82, s82, 0xffffff                               // 000000008248: 8652FF52 00FFFFFF
	s_cmp_lt_u32 s82, s66                                      // 000000008250: BF0A4252
	s_cselect_b32 s20, s36, s60                                // 000000008254: 85143C24
	v_readlane_b32 s82, v3, 15                                 // 000000008258: D2890052 00011F03
	s_and_b32 s82, s82, 0xffffff                               // 000000008260: 8652FF52 00FFFFFF
	s_cmp_lt_u32 s82, s66                                      // 000000008268: BF0A4252
	s_cselect_b32 s21, s36, s60                                // 00000000826C: 85153C24
	s_mov_b64 exec, s[20:21]                                   // 000000008270: BEFE0114
	global_atomic_add_f32 v6, v85, s[8:9]                      // 000000008274: DD348000 00085506
	s_mov_b64 exec, s[36:37]                                   // 00000000827C: BEFE0124
	ds_write_b64 v20, v[74:75]                                 // 000000008280: D89A0000 00004A14
	ds_write_b64 v20, v[78:79] offset:2176                     // 000000008288: D89A0880 00004E14
	ds_write_b64 v20, v[82:83] offset:4352                     // 000000008290: D89A1100 00005214
	ds_write_b64 v20, v[86:87] offset:6528                     // 000000008298: D89A1980 00005614
	s_waitcnt lgkmcnt(0)                                       // 0000000082A0: BF8CC07F
	s_barrier                                                  // 0000000082A4: BF8A0000
	ds_read_b32 v74, v21                                       // 0000000082A8: D86C0000 4A000015
	ds_read_b32 v75, v21 offset:64                             // 0000000082B0: D86C0040 4B000015
	ds_read_b32 v78, v21 offset:2176                           // 0000000082B8: D86C0880 4E000015
	ds_read_b32 v79, v21 offset:2240                           // 0000000082C0: D86C08C0 4F000015
	ds_read_b32 v82, v21 offset:4352                           // 0000000082C8: D86C1100 52000015
	ds_read_b32 v83, v21 offset:4416                           // 0000000082D0: D86C1140 53000015
	ds_read_b32 v86, v21 offset:6528                           // 0000000082D8: D86C1980 56000015
	ds_read_b32 v87, v21 offset:6592                           // 0000000082E0: D86C19C0 57000015
	s_waitcnt lgkmcnt(0)                                       // 0000000082E8: BF8CC07F
	v_mov_b32_e32 v7, 0                                        // 0000000082EC: 7E0E0280
	s_mov_b64 exec, s[36:37]                                   // 0000000082F0: BEFE0124
	v_mov_b32_e32 v6, v46                                      // 0000000082F4: 7E0C032E
	s_mov_b64 s[60:61], 0                                      // 0000000082F8: BEBC0180
	v_readlane_b32 s82, v3, 0                                  // 0000000082FC: D2890052 00010103
	s_and_b32 s82, s82, 0xffffff                               // 000000008304: 8652FF52 00FFFFFF
	s_cmp_lt_u32 s82, s66                                      // 00000000830C: BF0A4252
	s_cselect_b32 s20, s36, s60                                // 000000008310: 85143C24
	v_readlane_b32 s82, v3, 1                                  // 000000008314: D2890052 00010303
	s_and_b32 s82, s82, 0xffffff                               // 00000000831C: 8652FF52 00FFFFFF
	s_cmp_lt_u32 s82, s66                                      // 000000008324: BF0A4252
	s_cselect_b32 s21, s36, s60                                // 000000008328: 85153C24
	s_mov_b64 exec, s[20:21]                                   // 00000000832C: BEFE0114
	global_atomic_add_f32 v6, v74, s[8:9] offset:8             // 000000008330: DD348008 00084A06
	s_mov_b64 exec, s[36:37]                                   // 000000008338: BEFE0124
	v_mov_b32_e32 v6, v47                                      // 00000000833C: 7E0C032F
	s_mov_b64 s[60:61], 0                                      // 000000008340: BEBC0180
	v_readlane_b32 s82, v3, 2                                  // 000000008344: D2890052 00010503
	s_and_b32 s82, s82, 0xffffff                               // 00000000834C: 8652FF52 00FFFFFF
	s_cmp_lt_u32 s82, s66                                      // 000000008354: BF0A4252
	s_cselect_b32 s20, s36, s60                                // 000000008358: 85143C24
	v_readlane_b32 s82, v3, 3                                  // 00000000835C: D2890052 00010703
	s_and_b32 s82, s82, 0xffffff                               // 000000008364: 8652FF52 00FFFFFF
	s_cmp_lt_u32 s82, s66                                      // 00000000836C: BF0A4252
	s_cselect_b32 s21, s36, s60                                // 000000008370: 85153C24
	s_mov_b64 exec, s[20:21]                                   // 000000008374: BEFE0114
	global_atomic_add_f32 v6, v75, s[8:9] offset:8             // 000000008378: DD348008 00084B06
	s_mov_b64 exec, s[36:37]                                   // 000000008380: BEFE0124
	v_mov_b32_e32 v6, v48                                      // 000000008384: 7E0C0330
	s_mov_b64 s[60:61], 0                                      // 000000008388: BEBC0180
	v_readlane_b32 s82, v3, 4                                  // 00000000838C: D2890052 00010903
	s_and_b32 s82, s82, 0xffffff                               // 000000008394: 8652FF52 00FFFFFF
	s_cmp_lt_u32 s82, s66                                      // 00000000839C: BF0A4252
	s_cselect_b32 s20, s36, s60                                // 0000000083A0: 85143C24
	v_readlane_b32 s82, v3, 5                                  // 0000000083A4: D2890052 00010B03
	s_and_b32 s82, s82, 0xffffff                               // 0000000083AC: 8652FF52 00FFFFFF
	s_cmp_lt_u32 s82, s66                                      // 0000000083B4: BF0A4252
	s_cselect_b32 s21, s36, s60                                // 0000000083B8: 85153C24
	s_mov_b64 exec, s[20:21]                                   // 0000000083BC: BEFE0114
	global_atomic_add_f32 v6, v78, s[8:9] offset:8             // 0000000083C0: DD348008 00084E06
	s_mov_b64 exec, s[36:37]                                   // 0000000083C8: BEFE0124
	v_mov_b32_e32 v6, v49                                      // 0000000083CC: 7E0C0331
	s_mov_b64 s[60:61], 0                                      // 0000000083D0: BEBC0180
	v_readlane_b32 s82, v3, 6                                  // 0000000083D4: D2890052 00010D03
	s_and_b32 s82, s82, 0xffffff                               // 0000000083DC: 8652FF52 00FFFFFF
	s_cmp_lt_u32 s82, s66                                      // 0000000083E4: BF0A4252
	s_cselect_b32 s20, s36, s60                                // 0000000083E8: 85143C24
	v_readlane_b32 s82, v3, 7                                  // 0000000083EC: D2890052 00010F03
	s_and_b32 s82, s82, 0xffffff                               // 0000000083F4: 8652FF52 00FFFFFF
	s_cmp_lt_u32 s82, s66                                      // 0000000083FC: BF0A4252
	s_cselect_b32 s21, s36, s60                                // 000000008400: 85153C24
	s_mov_b64 exec, s[20:21]                                   // 000000008404: BEFE0114
	global_atomic_add_f32 v6, v79, s[8:9] offset:8             // 000000008408: DD348008 00084F06
	s_mov_b64 exec, s[36:37]                                   // 000000008410: BEFE0124
	v_mov_b32_e32 v6, v50                                      // 000000008414: 7E0C0332
	s_mov_b64 s[60:61], 0                                      // 000000008418: BEBC0180
	v_readlane_b32 s82, v3, 8                                  // 00000000841C: D2890052 00011103
	s_and_b32 s82, s82, 0xffffff                               // 000000008424: 8652FF52 00FFFFFF
	s_cmp_lt_u32 s82, s66                                      // 00000000842C: BF0A4252
	s_cselect_b32 s20, s36, s60                                // 000000008430: 85143C24
	v_readlane_b32 s82, v3, 9                                  // 000000008434: D2890052 00011303
	s_and_b32 s82, s82, 0xffffff                               // 00000000843C: 8652FF52 00FFFFFF
	s_cmp_lt_u32 s82, s66                                      // 000000008444: BF0A4252
	s_cselect_b32 s21, s36, s60                                // 000000008448: 85153C24
	s_mov_b64 exec, s[20:21]                                   // 00000000844C: BEFE0114
	global_atomic_add_f32 v6, v82, s[8:9] offset:8             // 000000008450: DD348008 00085206
	s_mov_b64 exec, s[36:37]                                   // 000000008458: BEFE0124
	v_mov_b32_e32 v6, v51                                      // 00000000845C: 7E0C0333
	s_mov_b64 s[60:61], 0                                      // 000000008460: BEBC0180
	v_readlane_b32 s82, v3, 10                                 // 000000008464: D2890052 00011503
	s_and_b32 s82, s82, 0xffffff                               // 00000000846C: 8652FF52 00FFFFFF
	s_cmp_lt_u32 s82, s66                                      // 000000008474: BF0A4252
	s_cselect_b32 s20, s36, s60                                // 000000008478: 85143C24
	v_readlane_b32 s82, v3, 11                                 // 00000000847C: D2890052 00011703
	s_and_b32 s82, s82, 0xffffff                               // 000000008484: 8652FF52 00FFFFFF
	s_cmp_lt_u32 s82, s66                                      // 00000000848C: BF0A4252
	s_cselect_b32 s21, s36, s60                                // 000000008490: 85153C24
	s_mov_b64 exec, s[20:21]                                   // 000000008494: BEFE0114
	global_atomic_add_f32 v6, v83, s[8:9] offset:8             // 000000008498: DD348008 00085306
	s_mov_b64 exec, s[36:37]                                   // 0000000084A0: BEFE0124
	v_mov_b32_e32 v6, v52                                      // 0000000084A4: 7E0C0334
	s_mov_b64 s[60:61], 0                                      // 0000000084A8: BEBC0180
	v_readlane_b32 s82, v3, 12                                 // 0000000084AC: D2890052 00011903
	s_and_b32 s82, s82, 0xffffff                               // 0000000084B4: 8652FF52 00FFFFFF
	s_cmp_lt_u32 s82, s66                                      // 0000000084BC: BF0A4252
	s_cselect_b32 s20, s36, s60                                // 0000000084C0: 85143C24
	v_readlane_b32 s82, v3, 13                                 // 0000000084C4: D2890052 00011B03
	s_and_b32 s82, s82, 0xffffff                               // 0000000084CC: 8652FF52 00FFFFFF
	s_cmp_lt_u32 s82, s66                                      // 0000000084D4: BF0A4252
	s_cselect_b32 s21, s36, s60                                // 0000000084D8: 85153C24
	s_mov_b64 exec, s[20:21]                                   // 0000000084DC: BEFE0114
	global_atomic_add_f32 v6, v86, s[8:9] offset:8             // 0000000084E0: DD348008 00085606
	s_mov_b64 exec, s[36:37]                                   // 0000000084E8: BEFE0124
	v_mov_b32_e32 v6, v53                                      // 0000000084EC: 7E0C0335
	s_mov_b64 s[60:61], 0                                      // 0000000084F0: BEBC0180
	v_readlane_b32 s82, v3, 14                                 // 0000000084F4: D2890052 00011D03
	s_and_b32 s82, s82, 0xffffff                               // 0000000084FC: 8652FF52 00FFFFFF
	s_cmp_lt_u32 s82, s66                                      // 000000008504: BF0A4252
	s_cselect_b32 s20, s36, s60                                // 000000008508: 85143C24
	v_readlane_b32 s82, v3, 15                                 // 00000000850C: D2890052 00011F03
	s_and_b32 s82, s82, 0xffffff                               // 000000008514: 8652FF52 00FFFFFF
	s_cmp_lt_u32 s82, s66                                      // 00000000851C: BF0A4252
	s_cselect_b32 s21, s36, s60                                // 000000008520: 85153C24
	s_mov_b64 exec, s[20:21]                                   // 000000008524: BEFE0114
	global_atomic_add_f32 v6, v87, s[8:9] offset:8             // 000000008528: DD348008 00085706
	s_mov_b64 exec, s[36:37]                                   // 000000008530: BEFE0124
	s_branch label_16D1                                        // 000000008534: BF820000

0000000000008538 <label_16D1>:
	s_waitcnt vmcnt(0) expcnt(0) lgkmcnt(0)                    // 000000008538: BF8C0000
	s_endpgm                                                   // 00000000853C: BF810000
